;; amdgpu-corpus repo=ROCm/rocFFT kind=compiled arch=gfx1201 opt=O3
	.text
	.amdgcn_target "amdgcn-amd-amdhsa--gfx1201"
	.amdhsa_code_object_version 6
	.protected	bluestein_single_fwd_len1782_dim1_dp_op_CI_CI ; -- Begin function bluestein_single_fwd_len1782_dim1_dp_op_CI_CI
	.globl	bluestein_single_fwd_len1782_dim1_dp_op_CI_CI
	.p2align	8
	.type	bluestein_single_fwd_len1782_dim1_dp_op_CI_CI,@function
bluestein_single_fwd_len1782_dim1_dp_op_CI_CI: ; @bluestein_single_fwd_len1782_dim1_dp_op_CI_CI
; %bb.0:
	s_load_b128 s[12:15], s[0:1], 0x28
	v_mul_u32_u24_e32 v1, 0x296, v0
	s_mov_b32 s2, exec_lo
	v_mov_b32_e32 v5, 0
	s_delay_alu instid0(VALU_DEP_2) | instskip(NEXT) | instid1(VALU_DEP_1)
	v_lshrrev_b32_e32 v1, 16, v1
	v_add_nc_u32_e32 v4, ttmp9, v1
	s_wait_kmcnt 0x0
	s_delay_alu instid0(VALU_DEP_1)
	v_cmpx_gt_u64_e64 s[12:13], v[4:5]
	s_cbranch_execz .LBB0_15
; %bb.1:
	s_clause 0x1
	s_load_b128 s[4:7], s[0:1], 0x18
	s_load_b64 s[12:13], s[0:1], 0x0
	v_mul_lo_u16 v1, 0x63, v1
	v_mov_b32_e32 v5, v4
	s_delay_alu instid0(VALU_DEP_2) | instskip(SKIP_2) | instid1(VALU_DEP_1)
	v_sub_nc_u16 v90, v0, v1
	scratch_store_b64 off, v[5:6], off offset:72 ; 8-byte Folded Spill
	v_and_b32_e32 v214, 0xffff, v90
	v_lshlrev_b32_e32 v168, 4, v214
	s_wait_kmcnt 0x0
	s_load_b128 s[8:11], s[4:5], 0x0
	s_clause 0x7
	global_load_b128 v[91:94], v168, s[12:13]
	global_load_b128 v[95:98], v168, s[12:13] offset:2592
	global_load_b128 v[99:102], v168, s[12:13] offset:5184
	global_load_b128 v[103:106], v168, s[12:13] offset:7776
	global_load_b128 v[107:110], v168, s[12:13] offset:10368
	global_load_b128 v[111:114], v168, s[12:13] offset:12960
	global_load_b128 v[115:118], v168, s[12:13] offset:15552
	global_load_b128 v[119:122], v168, s[12:13] offset:18144
	s_wait_kmcnt 0x0
	v_mad_co_u64_u32 v[0:1], null, s10, v4, 0
	v_mad_co_u64_u32 v[2:3], null, s8, v214, 0
	s_mul_u64 s[2:3], s[8:9], 0xa2
	s_delay_alu instid0(VALU_DEP_1) | instskip(NEXT) | instid1(VALU_DEP_1)
	v_mad_co_u64_u32 v[4:5], null, s11, v4, v[1:2]
	v_mad_co_u64_u32 v[5:6], null, s9, v214, v[3:4]
	v_mov_b32_e32 v1, v4
	s_delay_alu instid0(VALU_DEP_1) | instskip(NEXT) | instid1(VALU_DEP_3)
	v_lshlrev_b64_e32 v[0:1], 4, v[0:1]
	v_mov_b32_e32 v3, v5
	s_delay_alu instid0(VALU_DEP_2) | instskip(NEXT) | instid1(VALU_DEP_2)
	v_add_co_u32 v0, vcc_lo, s14, v0
	v_lshlrev_b64_e32 v[2:3], 4, v[2:3]
	s_delay_alu instid0(VALU_DEP_4) | instskip(SKIP_1) | instid1(VALU_DEP_2)
	v_add_co_ci_u32_e32 v1, vcc_lo, s15, v1, vcc_lo
	s_lshl_b64 s[14:15], s[2:3], 4
	v_add_co_u32 v0, vcc_lo, v0, v2
	s_wait_alu 0xfffd
	s_delay_alu instid0(VALU_DEP_2) | instskip(SKIP_1) | instid1(VALU_DEP_2)
	v_add_co_ci_u32_e32 v1, vcc_lo, v1, v3, vcc_lo
	s_wait_alu 0xfffe
	v_add_co_u32 v6, vcc_lo, v0, s14
	s_wait_alu 0xfffd
	s_delay_alu instid0(VALU_DEP_2) | instskip(NEXT) | instid1(VALU_DEP_2)
	v_add_co_ci_u32_e32 v7, vcc_lo, s15, v1, vcc_lo
	v_add_co_u32 v10, vcc_lo, v6, s14
	s_wait_alu 0xfffd
	s_delay_alu instid0(VALU_DEP_2)
	v_add_co_ci_u32_e32 v11, vcc_lo, s15, v7, vcc_lo
	s_clause 0x1
	global_load_b128 v[2:5], v[0:1], off
	global_load_b128 v[6:9], v[6:7], off
	v_add_co_u32 v14, vcc_lo, v10, s14
	s_wait_alu 0xfffd
	v_add_co_ci_u32_e32 v15, vcc_lo, s15, v11, vcc_lo
	s_delay_alu instid0(VALU_DEP_2) | instskip(SKIP_1) | instid1(VALU_DEP_2)
	v_add_co_u32 v0, vcc_lo, v14, s14
	s_wait_alu 0xfffd
	v_add_co_ci_u32_e32 v1, vcc_lo, s15, v15, vcc_lo
	s_clause 0x1
	global_load_b128 v[10:13], v[10:11], off
	global_load_b128 v[14:17], v[14:15], off
	v_add_co_u32 v22, vcc_lo, v0, s14
	s_wait_alu 0xfffd
	v_add_co_ci_u32_e32 v23, vcc_lo, s15, v1, vcc_lo
	global_load_b128 v[18:21], v[0:1], off
	v_add_co_u32 v0, vcc_lo, v22, s14
	s_wait_alu 0xfffd
	v_add_co_ci_u32_e32 v1, vcc_lo, s15, v23, vcc_lo
	;; [unrolled: 4-line block ×6, first 2 shown]
	s_clause 0x1
	global_load_b128 v[131:134], v168, s[12:13] offset:20736
	global_load_b128 v[123:126], v168, s[12:13] offset:23328
	global_load_b128 v[38:41], v[38:39], off
	global_load_b128 v[127:130], v168, s[12:13] offset:25920
	global_load_b128 v[42:45], v[0:1], off
	v_cmp_gt_u16_e32 vcc_lo, 63, v90
	s_wait_loadcnt 0x15
	scratch_store_b128 off, v[91:94], off offset:80 ; 16-byte Folded Spill
	s_wait_loadcnt 0x14
	scratch_store_b128 off, v[95:98], off offset:96 ; 16-byte Folded Spill
	;; [unrolled: 2-line block ×8, first 2 shown]
	s_wait_loadcnt 0xd
	v_mul_f64_e32 v[46:47], v[4:5], v[93:94]
	v_mul_f64_e32 v[48:49], v[2:3], v[93:94]
	s_wait_loadcnt 0xc
	v_mul_f64_e32 v[50:51], v[8:9], v[97:98]
	v_mul_f64_e32 v[52:53], v[6:7], v[97:98]
	s_wait_loadcnt 0xb
	v_mul_f64_e32 v[54:55], v[12:13], v[101:102]
	v_mul_f64_e32 v[56:57], v[10:11], v[101:102]
	s_wait_loadcnt 0xa
	v_mul_f64_e32 v[58:59], v[16:17], v[105:106]
	v_mul_f64_e32 v[60:61], v[14:15], v[105:106]
	s_wait_loadcnt 0x9
	v_mul_f64_e32 v[62:63], v[20:21], v[109:110]
	v_mul_f64_e32 v[64:65], v[18:19], v[109:110]
	s_wait_loadcnt 0x8
	v_mul_f64_e32 v[66:67], v[24:25], v[113:114]
	v_mul_f64_e32 v[68:69], v[22:23], v[113:114]
	s_wait_loadcnt 0x7
	v_mul_f64_e32 v[70:71], v[28:29], v[117:118]
	v_mul_f64_e32 v[72:73], v[26:27], v[117:118]
	s_wait_loadcnt 0x6
	v_mul_f64_e32 v[74:75], v[32:33], v[121:122]
	v_mul_f64_e32 v[76:77], v[30:31], v[121:122]
	s_wait_loadcnt 0x4
	v_mul_f64_e32 v[78:79], v[36:37], v[133:134]
	v_mul_f64_e32 v[80:81], v[34:35], v[133:134]
	s_wait_loadcnt 0x2
	v_mul_f64_e32 v[82:83], v[40:41], v[125:126]
	v_mul_f64_e32 v[84:85], v[38:39], v[125:126]
	s_wait_loadcnt 0x0
	v_mul_f64_e32 v[86:87], v[44:45], v[129:130]
	v_mul_f64_e32 v[88:89], v[42:43], v[129:130]
	v_fma_f64 v[2:3], v[2:3], v[91:92], v[46:47]
	v_fma_f64 v[4:5], v[4:5], v[91:92], -v[48:49]
	v_fma_f64 v[6:7], v[6:7], v[95:96], v[50:51]
	v_fma_f64 v[8:9], v[8:9], v[95:96], -v[52:53]
	scratch_store_b128 off, v[131:134], off offset:240 ; 16-byte Folded Spill
	v_fma_f64 v[10:11], v[10:11], v[99:100], v[54:55]
	v_fma_f64 v[12:13], v[12:13], v[99:100], -v[56:57]
	v_fma_f64 v[14:15], v[14:15], v[103:104], v[58:59]
	v_fma_f64 v[16:17], v[16:17], v[103:104], -v[60:61]
	s_clause 0x1
	scratch_store_b128 off, v[123:126], off offset:208
	scratch_store_b128 off, v[127:130], off offset:224
	v_fma_f64 v[18:19], v[18:19], v[107:108], v[62:63]
	v_fma_f64 v[20:21], v[20:21], v[107:108], -v[64:65]
	s_load_b64 s[10:11], s[0:1], 0x38
	s_load_b128 s[4:7], s[6:7], 0x0
	v_add_co_u32 v46, s2, s12, v168
	v_fma_f64 v[22:23], v[22:23], v[111:112], v[66:67]
	v_fma_f64 v[24:25], v[24:25], v[111:112], -v[68:69]
	v_add_co_ci_u32_e64 v47, null, s13, 0, s2
	v_fma_f64 v[26:27], v[26:27], v[115:116], v[70:71]
	v_fma_f64 v[28:29], v[28:29], v[115:116], -v[72:73]
	scratch_store_b64 off, v[46:47], off    ; 8-byte Folded Spill
	ds_store_b128 v168, v[2:5]
	ds_store_b128 v168, v[6:9] offset:2592
	ds_store_b128 v168, v[10:13] offset:5184
	;; [unrolled: 1-line block ×5, first 2 shown]
	v_fma_f64 v[30:31], v[30:31], v[119:120], v[74:75]
	v_fma_f64 v[32:33], v[32:33], v[119:120], -v[76:77]
	v_fma_f64 v[34:35], v[34:35], v[131:132], v[78:79]
	v_fma_f64 v[36:37], v[36:37], v[131:132], -v[80:81]
	;; [unrolled: 2-line block ×4, first 2 shown]
	ds_store_b128 v168, v[26:29] offset:15552
	ds_store_b128 v168, v[30:33] offset:18144
	;; [unrolled: 1-line block ×5, first 2 shown]
	s_and_saveexec_b32 s3, vcc_lo
	s_cbranch_execz .LBB0_3
; %bb.2:
	scratch_load_b64 v[80:81], off, off     ; 8-byte Folded Reload
	v_mad_co_u64_u32 v[24:25], null, 0xffffa0f0, s8, v[0:1]
	s_mul_i32 s2, s9, 0xffffa0f0
	s_wait_loadcnt 0x0
	s_clause 0x1
	global_load_b128 v[0:3], v[80:81], off offset:1584
	global_load_b128 v[4:7], v[80:81], off offset:4176
	s_wait_alu 0xfffe
	s_sub_co_i32 s2, s2, s8
	s_clause 0x1
	global_load_b128 v[8:11], v[80:81], off offset:6768
	global_load_b128 v[12:15], v[80:81], off offset:9360
	s_wait_alu 0xfffe
	v_add_nc_u32_e32 v25, s2, v25
	v_add_co_u32 v28, s2, v24, s14
	s_clause 0x1
	global_load_b128 v[16:19], v[80:81], off offset:11952
	global_load_b128 v[20:23], v[80:81], off offset:14544
	s_wait_alu 0xf1ff
	v_add_co_ci_u32_e64 v29, s2, s15, v25, s2
	v_add_co_u32 v32, s2, v28, s14
	global_load_b128 v[24:27], v[24:25], off
	s_wait_alu 0xf1ff
	v_add_co_ci_u32_e64 v33, s2, s15, v29, s2
	v_add_co_u32 v36, s2, v32, s14
	global_load_b128 v[28:31], v[28:29], off
	;; [unrolled: 4-line block ×3, first 2 shown]
	s_wait_alu 0xf1ff
	v_add_co_ci_u32_e64 v41, s2, s15, v37, s2
	v_add_co_u32 v44, s2, v40, s14
	s_wait_alu 0xf1ff
	s_delay_alu instid0(VALU_DEP_2) | instskip(NEXT) | instid1(VALU_DEP_2)
	v_add_co_ci_u32_e64 v45, s2, s15, v41, s2
	v_add_co_u32 v48, s2, v44, s14
	s_wait_alu 0xf1ff
	s_delay_alu instid0(VALU_DEP_2) | instskip(NEXT) | instid1(VALU_DEP_2)
	;; [unrolled: 4-line block ×3, first 2 shown]
	v_add_co_ci_u32_e64 v57, s2, s15, v49, s2
	v_add_co_u32 v64, s2, v56, s14
	global_load_b128 v[36:39], v[36:37], off
	global_load_b128 v[40:43], v[40:41], off
	global_load_b128 v[44:47], v[44:45], off
	global_load_b128 v[48:51], v[48:49], off
	global_load_b128 v[52:55], v[56:57], off
	s_wait_alu 0xf1ff
	v_add_co_ci_u32_e64 v65, s2, s15, v57, s2
	v_add_co_u32 v72, s2, v64, s14
	s_clause 0x1
	global_load_b128 v[56:59], v[80:81], off offset:17136
	global_load_b128 v[60:63], v[80:81], off offset:19728
	s_wait_alu 0xf1ff
	v_add_co_ci_u32_e64 v73, s2, s15, v65, s2
	v_add_co_u32 v84, s2, v72, s14
	global_load_b128 v[64:67], v[64:65], off
	s_wait_alu 0xf1ff
	v_add_co_ci_u32_e64 v85, s2, s15, v73, s2
	global_load_b128 v[68:71], v[80:81], off offset:22320
	global_load_b128 v[72:75], v[72:73], off
	s_clause 0x1
	global_load_b128 v[76:79], v[80:81], off offset:24912
	global_load_b128 v[80:83], v[80:81], off offset:27504
	global_load_b128 v[84:87], v[84:85], off
	s_wait_loadcnt 0xf
	v_mul_f64_e32 v[88:89], v[26:27], v[2:3]
	v_mul_f64_e32 v[2:3], v[24:25], v[2:3]
	s_wait_loadcnt 0xe
	v_mul_f64_e32 v[90:91], v[30:31], v[6:7]
	v_mul_f64_e32 v[6:7], v[28:29], v[6:7]
	;; [unrolled: 3-line block ×8, first 2 shown]
	v_fma_f64 v[22:23], v[24:25], v[0:1], v[88:89]
	v_fma_f64 v[24:25], v[26:27], v[0:1], -v[2:3]
	s_wait_loadcnt 0x4
	v_mul_f64_e32 v[106:107], v[66:67], v[70:71]
	v_mul_f64_e32 v[70:71], v[64:65], v[70:71]
	s_wait_loadcnt 0x2
	v_mul_f64_e32 v[108:109], v[74:75], v[78:79]
	v_mul_f64_e32 v[78:79], v[72:73], v[78:79]
	;; [unrolled: 3-line block ×3, first 2 shown]
	v_fma_f64 v[0:1], v[28:29], v[4:5], v[90:91]
	v_fma_f64 v[2:3], v[30:31], v[4:5], -v[6:7]
	v_fma_f64 v[4:5], v[32:33], v[8:9], v[92:93]
	v_fma_f64 v[6:7], v[34:35], v[8:9], -v[10:11]
	v_fma_f64 v[8:9], v[36:37], v[12:13], v[94:95]
	v_fma_f64 v[10:11], v[38:39], v[12:13], -v[14:15]
	v_fma_f64 v[12:13], v[40:41], v[16:17], v[96:97]
	v_fma_f64 v[14:15], v[42:43], v[16:17], -v[18:19]
	v_fma_f64 v[16:17], v[44:45], v[20:21], v[98:99]
	v_fma_f64 v[18:19], v[46:47], v[20:21], -v[100:101]
	v_fma_f64 v[26:27], v[48:49], v[56:57], v[102:103]
	v_fma_f64 v[28:29], v[50:51], v[56:57], -v[58:59]
	v_fma_f64 v[30:31], v[52:53], v[60:61], v[104:105]
	v_fma_f64 v[32:33], v[54:55], v[60:61], -v[62:63]
	v_fma_f64 v[34:35], v[64:65], v[68:69], v[106:107]
	v_fma_f64 v[36:37], v[66:67], v[68:69], -v[70:71]
	v_fma_f64 v[38:39], v[72:73], v[76:77], v[108:109]
	v_fma_f64 v[40:41], v[74:75], v[76:77], -v[78:79]
	v_fma_f64 v[42:43], v[84:85], v[80:81], v[110:111]
	v_fma_f64 v[44:45], v[86:87], v[80:81], -v[82:83]
	ds_store_b128 v168, v[22:25] offset:1584
	ds_store_b128 v168, v[0:3] offset:4176
	;; [unrolled: 1-line block ×11, first 2 shown]
.LBB0_3:
	s_wait_alu 0xfffe
	s_or_b32 exec_lo, exec_lo, s3
	global_wb scope:SCOPE_SE
	s_wait_storecnt_dscnt 0x0
	s_wait_kmcnt 0x0
	s_barrier_signal -1
	s_barrier_wait -1
	global_inv scope:SCOPE_SE
	ds_load_b128 v[28:31], v168
	ds_load_b128 v[36:39], v168 offset:2592
	ds_load_b128 v[44:47], v168 offset:5184
	;; [unrolled: 1-line block ×10, first 2 shown]
	s_load_b64 s[0:1], s[0:1], 0x8
                                        ; implicit-def: $vgpr4_vgpr5
                                        ; implicit-def: $vgpr24_vgpr25
                                        ; implicit-def: $vgpr60_vgpr61
                                        ; implicit-def: $vgpr68_vgpr69
                                        ; implicit-def: $vgpr72_vgpr73
                                        ; implicit-def: $vgpr64_vgpr65
                                        ; implicit-def: $vgpr20_vgpr21
                                        ; implicit-def: $vgpr16_vgpr17
                                        ; implicit-def: $vgpr12_vgpr13
                                        ; implicit-def: $vgpr8_vgpr9
                                        ; implicit-def: $vgpr0_vgpr1
	s_and_saveexec_b32 s2, vcc_lo
	s_cbranch_execz .LBB0_5
; %bb.4:
	ds_load_b128 v[4:7], v168 offset:1584
	ds_load_b128 v[24:27], v168 offset:4176
	;; [unrolled: 1-line block ×11, first 2 shown]
.LBB0_5:
	s_wait_alu 0xfffe
	s_or_b32 exec_lo, exec_lo, s2
	s_wait_dscnt 0x9
	v_add_f64_e32 v[88:89], v[28:29], v[36:37]
	v_add_f64_e32 v[90:91], v[30:31], v[38:39]
	s_mov_b32 s26, 0xf8bb580b
	s_mov_b32 s24, 0x8eee2c13
	;; [unrolled: 1-line block ×28, first 2 shown]
	s_wait_dscnt 0x0
	v_add_f64_e64 v[150:151], v[24:25], -v[0:1]
	v_mul_lo_u16 v169, v214, 11
	s_delay_alu instid0(VALU_DEP_1)
	v_and_b32_e32 v169, 0xffff, v169
	v_add_f64_e32 v[88:89], v[88:89], v[44:45]
	v_add_f64_e32 v[90:91], v[90:91], v[46:47]
	v_mul_f64_e32 v[158:159], s[24:25], v[150:151]
	v_mul_f64_e32 v[162:163], s[20:21], v[150:151]
	;; [unrolled: 1-line block ×3, first 2 shown]
	v_add_f64_e32 v[88:89], v[88:89], v[52:53]
	v_add_f64_e32 v[90:91], v[90:91], v[54:55]
	s_delay_alu instid0(VALU_DEP_2) | instskip(NEXT) | instid1(VALU_DEP_2)
	v_add_f64_e32 v[88:89], v[88:89], v[76:77]
	v_add_f64_e32 v[90:91], v[90:91], v[78:79]
	s_delay_alu instid0(VALU_DEP_2) | instskip(NEXT) | instid1(VALU_DEP_2)
	v_add_f64_e32 v[92:93], v[88:89], v[84:85]
	v_add_f64_e32 v[94:95], v[90:91], v[86:87]
	v_add_f64_e32 v[88:89], v[84:85], v[80:81]
	v_add_f64_e32 v[90:91], v[86:87], v[82:83]
	v_add_f64_e64 v[84:85], v[84:85], -v[80:81]
	v_add_f64_e64 v[86:87], v[86:87], -v[82:83]
	v_add_f64_e32 v[92:93], v[92:93], v[80:81]
	v_add_f64_e32 v[94:95], v[94:95], v[82:83]
	v_add_f64_e32 v[80:81], v[76:77], v[56:57]
	v_add_f64_e32 v[82:83], v[78:79], v[58:59]
	v_add_f64_e64 v[76:77], v[76:77], -v[56:57]
	v_add_f64_e64 v[78:79], v[78:79], -v[58:59]
	;; [unrolled: 6-line block ×4, first 2 shown]
	v_add_f64_e32 v[40:41], v[92:93], v[40:41]
	v_add_f64_e32 v[42:43], v[94:95], v[42:43]
	v_add_f64_e64 v[92:93], v[38:39], -v[34:35]
	v_add_f64_e32 v[94:95], v[36:37], v[32:33]
	v_add_f64_e32 v[38:39], v[38:39], v[34:35]
	v_add_f64_e64 v[36:37], v[36:37], -v[32:33]
	v_add_f64_e32 v[32:33], v[40:41], v[32:33]
	v_add_f64_e32 v[34:35], v[42:43], v[34:35]
	v_mul_f64_e32 v[40:41], s[26:27], v[92:93]
	v_mul_f64_e32 v[42:43], s[24:25], v[92:93]
	;; [unrolled: 1-line block ×8, first 2 shown]
	v_fma_f64 v[100:101], v[94:95], s[18:19], -v[40:41]
	v_fma_f64 v[40:41], v[94:95], s[18:19], v[40:41]
	s_wait_alu 0xfffe
	v_fma_f64 v[102:103], v[94:95], s[14:15], -v[42:43]
	v_fma_f64 v[42:43], v[94:95], s[14:15], v[42:43]
	v_fma_f64 v[104:105], v[94:95], s[2:3], -v[96:97]
	v_fma_f64 v[96:97], v[94:95], s[2:3], v[96:97]
	;; [unrolled: 2-line block ×4, first 2 shown]
	v_mul_f64_e32 v[94:95], s[26:27], v[36:37]
	v_mul_f64_e32 v[36:37], s[30:31], v[36:37]
	v_fma_f64 v[118:119], v[38:39], s[14:15], v[110:111]
	v_fma_f64 v[110:111], v[38:39], s[14:15], -v[110:111]
	v_fma_f64 v[120:121], v[38:39], s[2:3], v[112:113]
	v_fma_f64 v[112:113], v[38:39], s[2:3], -v[112:113]
	;; [unrolled: 2-line block ×3, first 2 shown]
	v_add_f64_e32 v[40:41], v[28:29], v[40:41]
	v_add_f64_e32 v[102:103], v[28:29], v[102:103]
	;; [unrolled: 1-line block ×8, first 2 shown]
	v_fma_f64 v[116:117], v[38:39], s[18:19], v[94:95]
	v_fma_f64 v[94:95], v[38:39], s[18:19], -v[94:95]
	v_fma_f64 v[124:125], v[38:39], s[8:9], v[36:37]
	v_fma_f64 v[36:37], v[38:39], s[8:9], -v[36:37]
	v_add_f64_e32 v[38:39], v[28:29], v[100:101]
	v_add_f64_e32 v[110:111], v[30:31], v[110:111]
	;; [unrolled: 1-line block ×12, first 2 shown]
	v_mul_f64_e32 v[36:37], s[24:25], v[46:47]
	s_delay_alu instid0(VALU_DEP_1) | instskip(SKIP_1) | instid1(VALU_DEP_2)
	v_fma_f64 v[92:93], v[48:49], s[14:15], -v[36:37]
	v_fma_f64 v[36:37], v[48:49], s[14:15], v[36:37]
	v_add_f64_e32 v[38:39], v[92:93], v[38:39]
	v_mul_f64_e32 v[92:93], s[24:25], v[44:45]
	s_delay_alu instid0(VALU_DEP_3) | instskip(NEXT) | instid1(VALU_DEP_2)
	v_add_f64_e32 v[36:37], v[36:37], v[40:41]
	v_fma_f64 v[124:125], v[50:51], s[14:15], v[92:93]
	v_fma_f64 v[40:41], v[50:51], s[14:15], -v[92:93]
	s_delay_alu instid0(VALU_DEP_2) | instskip(SKIP_1) | instid1(VALU_DEP_3)
	v_add_f64_e32 v[100:101], v[124:125], v[100:101]
	v_mul_f64_e32 v[124:125], s[20:21], v[54:55]
	v_add_f64_e32 v[40:41], v[40:41], v[94:95]
	v_mul_f64_e32 v[94:95], s[38:39], v[54:55]
	s_delay_alu instid0(VALU_DEP_3) | instskip(SKIP_1) | instid1(VALU_DEP_2)
	v_fma_f64 v[126:127], v[56:57], s[2:3], -v[124:125]
	v_fma_f64 v[92:93], v[56:57], s[2:3], v[124:125]
	v_add_f64_e32 v[38:39], v[126:127], v[38:39]
	v_mul_f64_e32 v[126:127], s[20:21], v[52:53]
	s_delay_alu instid0(VALU_DEP_3) | instskip(NEXT) | instid1(VALU_DEP_2)
	v_add_f64_e32 v[36:37], v[92:93], v[36:37]
	v_fma_f64 v[128:129], v[58:59], s[2:3], v[126:127]
	v_fma_f64 v[92:93], v[58:59], s[2:3], -v[126:127]
	s_delay_alu instid0(VALU_DEP_2) | instskip(SKIP_1) | instid1(VALU_DEP_3)
	v_add_f64_e32 v[100:101], v[128:129], v[100:101]
	v_mul_f64_e32 v[128:129], s[22:23], v[78:79]
	v_add_f64_e32 v[40:41], v[92:93], v[40:41]
	s_delay_alu instid0(VALU_DEP_2) | instskip(SKIP_1) | instid1(VALU_DEP_2)
	v_fma_f64 v[130:131], v[80:81], s[16:17], -v[128:129]
	v_fma_f64 v[92:93], v[80:81], s[16:17], v[128:129]
	v_add_f64_e32 v[38:39], v[130:131], v[38:39]
	v_mul_f64_e32 v[130:131], s[22:23], v[76:77]
	s_delay_alu instid0(VALU_DEP_3) | instskip(NEXT) | instid1(VALU_DEP_2)
	v_add_f64_e32 v[36:37], v[92:93], v[36:37]
	v_fma_f64 v[132:133], v[82:83], s[16:17], v[130:131]
	v_fma_f64 v[92:93], v[82:83], s[16:17], -v[130:131]
	s_delay_alu instid0(VALU_DEP_2) | instskip(SKIP_1) | instid1(VALU_DEP_3)
	v_add_f64_e32 v[100:101], v[132:133], v[100:101]
	v_mul_f64_e32 v[132:133], s[30:31], v[86:87]
	v_add_f64_e32 v[40:41], v[92:93], v[40:41]
	s_delay_alu instid0(VALU_DEP_2) | instskip(SKIP_1) | instid1(VALU_DEP_2)
	v_fma_f64 v[134:135], v[88:89], s[8:9], -v[132:133]
	v_fma_f64 v[92:93], v[88:89], s[8:9], v[132:133]
	v_add_f64_e32 v[172:173], v[134:135], v[38:39]
	v_mul_f64_e32 v[38:39], s[30:31], v[84:85]
	s_delay_alu instid0(VALU_DEP_3) | instskip(SKIP_1) | instid1(VALU_DEP_3)
	v_add_f64_e32 v[176:177], v[92:93], v[36:37]
	v_mul_f64_e32 v[36:37], s[22:23], v[46:47]
	v_fma_f64 v[134:135], v[90:91], s[8:9], v[38:39]
	v_fma_f64 v[38:39], v[90:91], s[8:9], -v[38:39]
	s_delay_alu instid0(VALU_DEP_2) | instskip(NEXT) | instid1(VALU_DEP_2)
	v_add_f64_e32 v[174:175], v[134:135], v[100:101]
	v_add_f64_e32 v[178:179], v[38:39], v[40:41]
	v_fma_f64 v[38:39], v[48:49], s[16:17], -v[36:37]
	v_mul_f64_e32 v[40:41], s[22:23], v[44:45]
	v_fma_f64 v[100:101], v[56:57], s[8:9], -v[94:95]
	v_fma_f64 v[36:37], v[48:49], s[16:17], v[36:37]
	s_delay_alu instid0(VALU_DEP_4) | instskip(NEXT) | instid1(VALU_DEP_4)
	v_add_f64_e32 v[38:39], v[38:39], v[102:103]
	v_fma_f64 v[92:93], v[50:51], s[16:17], v[40:41]
	v_fma_f64 v[40:41], v[50:51], s[16:17], -v[40:41]
	s_delay_alu instid0(VALU_DEP_4)
	v_add_f64_e32 v[36:37], v[36:37], v[42:43]
	v_fma_f64 v[42:43], v[56:57], s[8:9], v[94:95]
	v_add_f64_e32 v[38:39], v[100:101], v[38:39]
	v_mul_f64_e32 v[100:101], s[38:39], v[52:53]
	v_add_f64_e32 v[92:93], v[92:93], v[116:117]
	v_add_f64_e32 v[40:41], v[40:41], v[110:111]
	;; [unrolled: 1-line block ×3, first 2 shown]
	s_delay_alu instid0(VALU_DEP_4) | instskip(SKIP_1) | instid1(VALU_DEP_2)
	v_fma_f64 v[102:103], v[58:59], s[8:9], v[100:101]
	v_fma_f64 v[42:43], v[58:59], s[8:9], -v[100:101]
	v_add_f64_e32 v[92:93], v[102:103], v[92:93]
	v_mul_f64_e32 v[102:103], s[34:35], v[78:79]
	s_delay_alu instid0(VALU_DEP_3) | instskip(NEXT) | instid1(VALU_DEP_2)
	v_add_f64_e32 v[40:41], v[42:43], v[40:41]
	v_fma_f64 v[116:117], v[80:81], s[2:3], -v[102:103]
	v_fma_f64 v[42:43], v[80:81], s[2:3], v[102:103]
	s_delay_alu instid0(VALU_DEP_2) | instskip(SKIP_1) | instid1(VALU_DEP_3)
	v_add_f64_e32 v[38:39], v[116:117], v[38:39]
	v_mul_f64_e32 v[116:117], s[34:35], v[76:77]
	v_add_f64_e32 v[36:37], v[42:43], v[36:37]
	s_delay_alu instid0(VALU_DEP_2) | instskip(SKIP_1) | instid1(VALU_DEP_2)
	v_fma_f64 v[124:125], v[82:83], s[2:3], v[116:117]
	v_fma_f64 v[42:43], v[82:83], s[2:3], -v[116:117]
	v_add_f64_e32 v[92:93], v[124:125], v[92:93]
	v_mul_f64_e32 v[124:125], s[28:29], v[86:87]
	s_delay_alu instid0(VALU_DEP_3) | instskip(NEXT) | instid1(VALU_DEP_2)
	v_add_f64_e32 v[40:41], v[42:43], v[40:41]
	v_fma_f64 v[126:127], v[88:89], s[18:19], -v[124:125]
	v_fma_f64 v[42:43], v[88:89], s[18:19], v[124:125]
	s_delay_alu instid0(VALU_DEP_2) | instskip(SKIP_1) | instid1(VALU_DEP_3)
	v_add_f64_e32 v[180:181], v[126:127], v[38:39]
	v_mul_f64_e32 v[38:39], s[28:29], v[84:85]
	v_add_f64_e32 v[184:185], v[42:43], v[36:37]
	v_mul_f64_e32 v[36:37], s[38:39], v[46:47]
	s_delay_alu instid0(VALU_DEP_3) | instskip(SKIP_1) | instid1(VALU_DEP_2)
	v_fma_f64 v[126:127], v[90:91], s[18:19], v[38:39]
	v_fma_f64 v[38:39], v[90:91], s[18:19], -v[38:39]
	v_add_f64_e32 v[182:183], v[126:127], v[92:93]
	s_delay_alu instid0(VALU_DEP_2) | instskip(SKIP_4) | instid1(VALU_DEP_4)
	v_add_f64_e32 v[186:187], v[38:39], v[40:41]
	v_fma_f64 v[38:39], v[48:49], s[8:9], -v[36:37]
	v_mul_f64_e32 v[92:93], s[36:37], v[54:55]
	v_mul_f64_e32 v[40:41], s[38:39], v[44:45]
	v_fma_f64 v[36:37], v[48:49], s[8:9], v[36:37]
	v_add_f64_e32 v[38:39], v[38:39], v[104:105]
	s_delay_alu instid0(VALU_DEP_4) | instskip(NEXT) | instid1(VALU_DEP_4)
	v_fma_f64 v[94:95], v[56:57], s[14:15], -v[92:93]
	v_fma_f64 v[42:43], v[50:51], s[8:9], v[40:41]
	s_delay_alu instid0(VALU_DEP_4) | instskip(SKIP_1) | instid1(VALU_DEP_4)
	v_add_f64_e32 v[36:37], v[36:37], v[96:97]
	v_fma_f64 v[40:41], v[50:51], s[8:9], -v[40:41]
	v_add_f64_e32 v[38:39], v[94:95], v[38:39]
	v_mul_f64_e32 v[94:95], s[36:37], v[52:53]
	v_add_f64_e32 v[42:43], v[42:43], v[118:119]
	s_delay_alu instid0(VALU_DEP_4) | instskip(SKIP_1) | instid1(VALU_DEP_4)
	v_add_f64_e32 v[40:41], v[40:41], v[112:113]
	v_add_f64_e32 v[118:119], v[26:27], v[2:3]
	v_fma_f64 v[100:101], v[58:59], s[14:15], v[94:95]
	s_delay_alu instid0(VALU_DEP_1) | instskip(SKIP_1) | instid1(VALU_DEP_1)
	v_add_f64_e32 v[42:43], v[100:101], v[42:43]
	v_mul_f64_e32 v[100:101], s[26:27], v[78:79]
	v_fma_f64 v[102:103], v[80:81], s[18:19], -v[100:101]
	s_delay_alu instid0(VALU_DEP_1) | instskip(SKIP_1) | instid1(VALU_DEP_1)
	v_add_f64_e32 v[38:39], v[102:103], v[38:39]
	v_mul_f64_e32 v[102:103], s[26:27], v[76:77]
	v_fma_f64 v[104:105], v[82:83], s[18:19], v[102:103]
	s_delay_alu instid0(VALU_DEP_1) | instskip(SKIP_1) | instid1(VALU_DEP_1)
	v_add_f64_e32 v[42:43], v[104:105], v[42:43]
	v_mul_f64_e32 v[104:105], s[22:23], v[86:87]
	v_fma_f64 v[110:111], v[88:89], s[16:17], -v[104:105]
	s_delay_alu instid0(VALU_DEP_1) | instskip(SKIP_1) | instid1(VALU_DEP_1)
	v_add_f64_e32 v[188:189], v[110:111], v[38:39]
	v_mul_f64_e32 v[38:39], s[22:23], v[84:85]
	v_fma_f64 v[110:111], v[90:91], s[16:17], v[38:39]
	v_fma_f64 v[38:39], v[90:91], s[16:17], -v[38:39]
	s_delay_alu instid0(VALU_DEP_2) | instskip(SKIP_2) | instid1(VALU_DEP_2)
	v_add_f64_e32 v[190:191], v[110:111], v[42:43]
	v_fma_f64 v[42:43], v[56:57], s[14:15], v[92:93]
	v_mul_f64_e32 v[92:93], s[26:27], v[54:55]
	v_add_f64_e32 v[36:37], v[42:43], v[36:37]
	v_fma_f64 v[42:43], v[58:59], s[14:15], -v[94:95]
	s_delay_alu instid0(VALU_DEP_3) | instskip(NEXT) | instid1(VALU_DEP_2)
	v_fma_f64 v[94:95], v[56:57], s[18:19], -v[92:93]
	v_add_f64_e32 v[40:41], v[42:43], v[40:41]
	v_fma_f64 v[42:43], v[80:81], s[18:19], v[100:101]
	s_delay_alu instid0(VALU_DEP_1) | instskip(SKIP_1) | instid1(VALU_DEP_1)
	v_add_f64_e32 v[36:37], v[42:43], v[36:37]
	v_fma_f64 v[42:43], v[82:83], s[18:19], -v[102:103]
	v_add_f64_e32 v[40:41], v[42:43], v[40:41]
	v_fma_f64 v[42:43], v[88:89], s[16:17], v[104:105]
	s_delay_alu instid0(VALU_DEP_2) | instskip(NEXT) | instid1(VALU_DEP_2)
	v_add_f64_e32 v[194:195], v[38:39], v[40:41]
	v_add_f64_e32 v[192:193], v[42:43], v[36:37]
	v_mul_f64_e32 v[36:37], s[34:35], v[46:47]
	v_mul_f64_e32 v[40:41], s[34:35], v[44:45]
	s_delay_alu instid0(VALU_DEP_2) | instskip(NEXT) | instid1(VALU_DEP_2)
	v_fma_f64 v[38:39], v[48:49], s[2:3], -v[36:37]
	v_fma_f64 v[42:43], v[50:51], s[2:3], v[40:41]
	v_fma_f64 v[36:37], v[48:49], s[2:3], v[36:37]
	v_fma_f64 v[40:41], v[50:51], s[2:3], -v[40:41]
	s_delay_alu instid0(VALU_DEP_4) | instskip(NEXT) | instid1(VALU_DEP_4)
	v_add_f64_e32 v[38:39], v[38:39], v[106:107]
	v_add_f64_e32 v[42:43], v[42:43], v[120:121]
	s_delay_alu instid0(VALU_DEP_4) | instskip(NEXT) | instid1(VALU_DEP_4)
	v_add_f64_e32 v[36:37], v[36:37], v[98:99]
	v_add_f64_e32 v[40:41], v[40:41], v[114:115]
	v_add_f64_e64 v[98:99], v[26:27], -v[2:3]
	v_mul_f64_e32 v[120:121], s[26:27], v[150:151]
	v_add_f64_e32 v[38:39], v[94:95], v[38:39]
	v_mul_f64_e32 v[94:95], s[26:27], v[52:53]
	s_delay_alu instid0(VALU_DEP_4) | instskip(SKIP_2) | instid1(VALU_DEP_4)
	v_mul_f64_e32 v[156:157], s[24:25], v[98:99]
	v_mul_f64_e32 v[160:161], s[20:21], v[98:99]
	;; [unrolled: 1-line block ×3, first 2 shown]
	v_fma_f64 v[96:97], v[58:59], s[18:19], v[94:95]
	s_delay_alu instid0(VALU_DEP_1) | instskip(SKIP_1) | instid1(VALU_DEP_1)
	v_add_f64_e32 v[42:43], v[96:97], v[42:43]
	v_mul_f64_e32 v[96:97], s[30:31], v[78:79]
	v_fma_f64 v[100:101], v[80:81], s[8:9], -v[96:97]
	s_delay_alu instid0(VALU_DEP_1) | instskip(SKIP_1) | instid1(VALU_DEP_1)
	v_add_f64_e32 v[38:39], v[100:101], v[38:39]
	v_mul_f64_e32 v[100:101], s[30:31], v[76:77]
	v_fma_f64 v[102:103], v[82:83], s[8:9], v[100:101]
	s_delay_alu instid0(VALU_DEP_1) | instskip(SKIP_1) | instid1(VALU_DEP_1)
	v_add_f64_e32 v[42:43], v[102:103], v[42:43]
	v_mul_f64_e32 v[102:103], s[36:37], v[86:87]
	v_fma_f64 v[104:105], v[88:89], s[14:15], -v[102:103]
	s_delay_alu instid0(VALU_DEP_1) | instskip(SKIP_1) | instid1(VALU_DEP_1)
	v_add_f64_e32 v[196:197], v[104:105], v[38:39]
	v_mul_f64_e32 v[38:39], s[36:37], v[84:85]
	v_fma_f64 v[104:105], v[90:91], s[14:15], v[38:39]
	v_fma_f64 v[38:39], v[90:91], s[14:15], -v[38:39]
	s_delay_alu instid0(VALU_DEP_2) | instskip(SKIP_2) | instid1(VALU_DEP_2)
	v_add_f64_e32 v[198:199], v[104:105], v[42:43]
	v_fma_f64 v[42:43], v[56:57], s[18:19], v[92:93]
	v_add_f64_e64 v[92:93], v[74:75], -v[18:19]
	v_add_f64_e32 v[36:37], v[42:43], v[36:37]
	v_fma_f64 v[42:43], v[58:59], s[18:19], -v[94:95]
	v_add_f64_e32 v[94:95], v[24:25], v[0:1]
	s_delay_alu instid0(VALU_DEP_2) | instskip(SKIP_2) | instid1(VALU_DEP_2)
	v_add_f64_e32 v[40:41], v[42:43], v[40:41]
	v_fma_f64 v[42:43], v[80:81], s[8:9], v[96:97]
	v_mul_f64_e32 v[96:97], s[26:27], v[98:99]
	v_add_f64_e32 v[36:37], v[42:43], v[36:37]
	v_fma_f64 v[42:43], v[82:83], s[8:9], -v[100:101]
	v_add_f64_e64 v[100:101], v[66:67], -v[22:23]
	s_delay_alu instid0(VALU_DEP_2) | instskip(SKIP_1) | instid1(VALU_DEP_2)
	v_add_f64_e32 v[40:41], v[42:43], v[40:41]
	v_fma_f64 v[42:43], v[88:89], s[14:15], v[102:103]
	v_add_f64_e32 v[202:203], v[38:39], v[40:41]
	s_delay_alu instid0(VALU_DEP_2) | instskip(SKIP_3) | instid1(VALU_DEP_3)
	v_add_f64_e32 v[200:201], v[42:43], v[36:37]
	v_mul_f64_e32 v[36:37], s[28:29], v[46:47]
	v_mul_f64_e32 v[40:41], s[28:29], v[44:45]
	;; [unrolled: 1-line block ×3, first 2 shown]
	v_fma_f64 v[38:39], v[48:49], s[18:19], -v[36:37]
	s_delay_alu instid0(VALU_DEP_3) | instskip(NEXT) | instid1(VALU_DEP_3)
	v_fma_f64 v[42:43], v[50:51], s[18:19], v[40:41]
	v_fma_f64 v[46:47], v[56:57], s[16:17], -v[44:45]
	v_fma_f64 v[36:37], v[48:49], s[18:19], v[36:37]
	s_delay_alu instid0(VALU_DEP_4) | instskip(NEXT) | instid1(VALU_DEP_4)
	v_add_f64_e32 v[38:39], v[38:39], v[108:109]
	v_add_f64_e32 v[42:43], v[42:43], v[122:123]
	s_delay_alu instid0(VALU_DEP_3) | instskip(NEXT) | instid1(VALU_DEP_3)
	v_add_f64_e32 v[28:29], v[36:37], v[28:29]
	v_add_f64_e32 v[38:39], v[46:47], v[38:39]
	v_mul_f64_e32 v[46:47], s[22:23], v[52:53]
	s_delay_alu instid0(VALU_DEP_1) | instskip(NEXT) | instid1(VALU_DEP_1)
	v_fma_f64 v[52:53], v[58:59], s[16:17], v[46:47]
	v_add_f64_e32 v[42:43], v[52:53], v[42:43]
	v_mul_f64_e32 v[52:53], s[36:37], v[78:79]
	v_mul_f64_e32 v[78:79], s[20:21], v[84:85]
	s_delay_alu instid0(VALU_DEP_2) | instskip(SKIP_3) | instid1(VALU_DEP_4)
	v_fma_f64 v[54:55], v[80:81], s[14:15], -v[52:53]
	v_fma_f64 v[36:37], v[80:81], s[14:15], v[52:53]
	v_add_f64_e64 v[80:81], v[60:61], -v[8:9]
	v_add_f64_e32 v[52:53], v[70:71], v[14:15]
	v_add_f64_e32 v[38:39], v[54:55], v[38:39]
	v_mul_f64_e32 v[54:55], s[36:37], v[76:77]
	s_delay_alu instid0(VALU_DEP_4) | instskip(NEXT) | instid1(VALU_DEP_2)
	v_mul_f64_e32 v[112:113], s[22:23], v[80:81]
	v_fma_f64 v[76:77], v[82:83], s[14:15], v[54:55]
	s_delay_alu instid0(VALU_DEP_1) | instskip(SKIP_2) | instid1(VALU_DEP_2)
	v_add_f64_e32 v[42:43], v[76:77], v[42:43]
	v_mul_f64_e32 v[76:77], s[20:21], v[86:87]
	v_add_f64_e64 v[86:87], v[64:65], -v[20:21]
	v_fma_f64 v[84:85], v[88:89], s[2:3], -v[76:77]
	s_delay_alu instid0(VALU_DEP_2) | instskip(SKIP_1) | instid1(VALU_DEP_3)
	v_mul_f64_e32 v[132:133], s[28:29], v[86:87]
	v_mul_f64_e32 v[142:143], s[22:23], v[86:87]
	v_add_f64_e32 v[204:205], v[84:85], v[38:39]
	v_fma_f64 v[38:39], v[90:91], s[2:3], v[78:79]
	v_add_f64_e64 v[84:85], v[72:73], -v[16:17]
	s_delay_alu instid0(VALU_DEP_2)
	v_add_f64_e32 v[206:207], v[38:39], v[42:43]
	v_fma_f64 v[38:39], v[50:51], s[18:19], -v[40:41]
	v_fma_f64 v[40:41], v[56:57], s[16:17], v[44:45]
	v_fma_f64 v[42:43], v[58:59], s[16:17], -v[46:47]
	v_add_f64_e32 v[44:45], v[62:63], v[10:11]
	v_mul_f64_e32 v[46:47], s[24:25], v[80:81]
	v_mul_f64_e32 v[50:51], s[22:23], v[92:93]
	;; [unrolled: 1-line block ×4, first 2 shown]
	v_add_f64_e32 v[30:31], v[38:39], v[30:31]
	v_add_f64_e32 v[28:29], v[40:41], v[28:29]
	v_fma_f64 v[38:39], v[82:83], s[14:15], -v[54:55]
	v_fma_f64 v[40:41], v[88:89], s[2:3], v[76:77]
	v_add_f64_e64 v[88:89], v[62:63], -v[10:11]
	v_add_f64_e64 v[82:83], v[68:69], -v[12:13]
	v_add_f64_e32 v[76:77], v[74:75], v[18:19]
	v_add_f64_e32 v[30:31], v[42:43], v[30:31]
	;; [unrolled: 1-line block ×3, first 2 shown]
	v_fma_f64 v[42:43], v[90:91], s[2:3], -v[78:79]
	v_add_f64_e64 v[90:91], v[70:71], -v[14:15]
	v_mul_f64_e32 v[78:79], s[22:23], v[84:85]
	v_mul_f64_e32 v[54:55], s[20:21], v[82:83]
	;; [unrolled: 1-line block ×4, first 2 shown]
	v_add_f64_e32 v[30:31], v[38:39], v[30:31]
	v_add_f64_e32 v[208:209], v[40:41], v[28:29]
	v_fma_f64 v[28:29], v[94:95], s[18:19], v[96:97]
	v_fma_f64 v[40:41], v[44:45], s[14:15], -v[46:47]
	s_delay_alu instid0(VALU_DEP_4) | instskip(SKIP_1) | instid1(VALU_DEP_4)
	v_add_f64_e32 v[210:211], v[42:43], v[30:31]
	v_mul_f64_e32 v[30:31], s[24:25], v[88:89]
	v_add_f64_e32 v[36:37], v[4:5], v[28:29]
	v_add_f64_e32 v[28:29], v[60:61], v[8:9]
	v_mul_f64_e32 v[42:43], s[20:21], v[90:91]
	s_delay_alu instid0(VALU_DEP_2) | instskip(NEXT) | instid1(VALU_DEP_1)
	v_fma_f64 v[38:39], v[28:29], s[14:15], v[30:31]
	v_add_f64_e32 v[36:37], v[38:39], v[36:37]
	v_fma_f64 v[38:39], v[118:119], s[18:19], -v[120:121]
	s_delay_alu instid0(VALU_DEP_1) | instskip(NEXT) | instid1(VALU_DEP_1)
	v_add_f64_e32 v[38:39], v[6:7], v[38:39]
	v_add_f64_e32 v[38:39], v[40:41], v[38:39]
	;; [unrolled: 1-line block ×3, first 2 shown]
	s_delay_alu instid0(VALU_DEP_1) | instskip(NEXT) | instid1(VALU_DEP_1)
	v_fma_f64 v[48:49], v[40:41], s[2:3], v[42:43]
	v_add_f64_e32 v[36:37], v[48:49], v[36:37]
	v_fma_f64 v[48:49], v[52:53], s[2:3], -v[54:55]
	s_delay_alu instid0(VALU_DEP_1) | instskip(SKIP_1) | instid1(VALU_DEP_1)
	v_add_f64_e32 v[38:39], v[48:49], v[38:39]
	v_add_f64_e32 v[48:49], v[72:73], v[16:17]
	v_fma_f64 v[56:57], v[48:49], s[16:17], v[50:51]
	s_delay_alu instid0(VALU_DEP_1) | instskip(SKIP_1) | instid1(VALU_DEP_1)
	v_add_f64_e32 v[56:57], v[56:57], v[36:37]
	v_fma_f64 v[36:37], v[76:77], s[16:17], -v[78:79]
	v_add_f64_e32 v[102:103], v[36:37], v[38:39]
	v_add_f64_e32 v[36:37], v[64:65], v[20:21]
	v_mul_f64_e32 v[38:39], s[30:31], v[100:101]
	s_delay_alu instid0(VALU_DEP_1) | instskip(NEXT) | instid1(VALU_DEP_1)
	v_fma_f64 v[58:59], v[36:37], s[8:9], v[38:39]
	v_add_f64_e32 v[106:107], v[58:59], v[56:57]
	v_add_f64_e32 v[56:57], v[66:67], v[22:23]
	v_mul_f64_e32 v[58:59], s[30:31], v[86:87]
	s_delay_alu instid0(VALU_DEP_1) | instskip(NEXT) | instid1(VALU_DEP_1)
	v_fma_f64 v[104:105], v[56:57], s[8:9], -v[58:59]
	v_add_f64_e32 v[108:109], v[104:105], v[102:103]
	v_fma_f64 v[102:103], v[94:95], s[14:15], v[156:157]
	scratch_store_b128 off, v[106:109], off offset:8 ; 16-byte Folded Spill
	v_add_f64_e32 v[104:105], v[4:5], v[102:103]
	v_mul_f64_e32 v[102:103], s[22:23], v[88:89]
	v_fma_f64 v[108:109], v[44:45], s[16:17], -v[112:113]
	s_delay_alu instid0(VALU_DEP_2) | instskip(NEXT) | instid1(VALU_DEP_1)
	v_fma_f64 v[106:107], v[28:29], s[16:17], v[102:103]
	v_add_f64_e32 v[104:105], v[106:107], v[104:105]
	v_fma_f64 v[106:107], v[118:119], s[14:15], -v[158:159]
	s_delay_alu instid0(VALU_DEP_1) | instskip(NEXT) | instid1(VALU_DEP_1)
	v_add_f64_e32 v[106:107], v[6:7], v[106:107]
	v_add_f64_e32 v[108:109], v[108:109], v[106:107]
	v_mul_f64_e32 v[106:107], s[38:39], v[90:91]
	s_delay_alu instid0(VALU_DEP_1) | instskip(NEXT) | instid1(VALU_DEP_1)
	v_fma_f64 v[110:111], v[40:41], s[8:9], v[106:107]
	v_add_f64_e32 v[104:105], v[110:111], v[104:105]
	v_fma_f64 v[110:111], v[52:53], s[8:9], -v[124:125]
	s_delay_alu instid0(VALU_DEP_1) | instskip(SKIP_1) | instid1(VALU_DEP_1)
	v_add_f64_e32 v[108:109], v[110:111], v[108:109]
	v_mul_f64_e32 v[110:111], s[34:35], v[92:93]
	v_fma_f64 v[114:115], v[48:49], s[2:3], v[110:111]
	s_delay_alu instid0(VALU_DEP_1) | instskip(SKIP_1) | instid1(VALU_DEP_1)
	v_add_f64_e32 v[104:105], v[114:115], v[104:105]
	v_fma_f64 v[114:115], v[76:77], s[2:3], -v[130:131]
	v_add_f64_e32 v[114:115], v[114:115], v[108:109]
	v_mul_f64_e32 v[108:109], s[28:29], v[100:101]
	s_delay_alu instid0(VALU_DEP_1) | instskip(NEXT) | instid1(VALU_DEP_1)
	v_fma_f64 v[116:117], v[36:37], s[18:19], v[108:109]
	v_add_f64_e32 v[126:127], v[116:117], v[104:105]
	v_fma_f64 v[104:105], v[56:57], s[18:19], -v[132:133]
	s_delay_alu instid0(VALU_DEP_1)
	v_add_f64_e32 v[128:129], v[104:105], v[114:115]
	v_fma_f64 v[104:105], v[94:95], s[2:3], v[160:161]
	scratch_store_b128 off, v[126:129], off offset:24 ; 16-byte Folded Spill
	v_add_f64_e32 v[114:115], v[4:5], v[104:105]
	v_mul_f64_e32 v[104:105], s[38:39], v[88:89]
	v_mul_f64_e32 v[128:129], s[38:39], v[80:81]
	s_delay_alu instid0(VALU_DEP_2) | instskip(NEXT) | instid1(VALU_DEP_2)
	v_fma_f64 v[116:117], v[28:29], s[8:9], v[104:105]
	v_fma_f64 v[122:123], v[44:45], s[8:9], -v[128:129]
	s_delay_alu instid0(VALU_DEP_2) | instskip(SKIP_1) | instid1(VALU_DEP_1)
	v_add_f64_e32 v[116:117], v[116:117], v[114:115]
	v_fma_f64 v[114:115], v[118:119], s[2:3], -v[162:163]
	v_add_f64_e32 v[114:115], v[6:7], v[114:115]
	s_delay_alu instid0(VALU_DEP_1) | instskip(SKIP_1) | instid1(VALU_DEP_1)
	v_add_f64_e32 v[122:123], v[122:123], v[114:115]
	v_mul_f64_e32 v[114:115], s[36:37], v[90:91]
	v_fma_f64 v[126:127], v[40:41], s[14:15], v[114:115]
	s_delay_alu instid0(VALU_DEP_1) | instskip(SKIP_1) | instid1(VALU_DEP_1)
	v_add_f64_e32 v[116:117], v[126:127], v[116:117]
	v_fma_f64 v[126:127], v[52:53], s[14:15], -v[134:135]
	v_add_f64_e32 v[122:123], v[126:127], v[122:123]
	v_mul_f64_e32 v[126:127], s[26:27], v[92:93]
	s_delay_alu instid0(VALU_DEP_1) | instskip(NEXT) | instid1(VALU_DEP_1)
	v_fma_f64 v[136:137], v[48:49], s[18:19], v[126:127]
	v_add_f64_e32 v[136:137], v[136:137], v[116:117]
	v_fma_f64 v[116:117], v[76:77], s[18:19], -v[140:141]
	s_delay_alu instid0(VALU_DEP_1) | instskip(SKIP_1) | instid1(VALU_DEP_1)
	v_add_f64_e32 v[122:123], v[116:117], v[122:123]
	v_mul_f64_e32 v[116:117], s[22:23], v[100:101]
	v_fma_f64 v[138:139], v[36:37], s[16:17], v[116:117]
	s_delay_alu instid0(VALU_DEP_1) | instskip(SKIP_1) | instid1(VALU_DEP_1)
	v_add_f64_e32 v[144:145], v[138:139], v[136:137]
	v_fma_f64 v[136:137], v[56:57], s[16:17], -v[142:143]
	v_add_f64_e32 v[146:147], v[136:137], v[122:123]
	v_fma_f64 v[122:123], v[94:95], s[16:17], v[164:165]
	scratch_store_b128 off, v[144:147], off offset:40 ; 16-byte Folded Spill
	v_add_f64_e32 v[136:137], v[4:5], v[122:123]
	v_mul_f64_e32 v[122:123], s[34:35], v[88:89]
	v_mul_f64_e32 v[146:147], s[34:35], v[80:81]
	s_delay_alu instid0(VALU_DEP_2) | instskip(NEXT) | instid1(VALU_DEP_2)
	v_fma_f64 v[138:139], v[28:29], s[2:3], v[122:123]
	v_fma_f64 v[144:145], v[44:45], s[2:3], -v[146:147]
	s_delay_alu instid0(VALU_DEP_2) | instskip(SKIP_1) | instid1(VALU_DEP_1)
	v_add_f64_e32 v[138:139], v[138:139], v[136:137]
	v_fma_f64 v[136:137], v[118:119], s[16:17], -v[166:167]
	v_add_f64_e32 v[136:137], v[6:7], v[136:137]
	s_delay_alu instid0(VALU_DEP_1) | instskip(SKIP_1) | instid1(VALU_DEP_1)
	v_add_f64_e32 v[144:145], v[144:145], v[136:137]
	v_mul_f64_e32 v[136:137], s[26:27], v[90:91]
	v_fma_f64 v[148:149], v[40:41], s[18:19], v[136:137]
	s_delay_alu instid0(VALU_DEP_1) | instskip(SKIP_1) | instid1(VALU_DEP_1)
	v_add_f64_e32 v[138:139], v[148:149], v[138:139]
	v_mul_f64_e32 v[148:149], s[26:27], v[82:83]
	v_fma_f64 v[152:153], v[52:53], s[18:19], -v[148:149]
	s_delay_alu instid0(VALU_DEP_1) | instskip(SKIP_1) | instid1(VALU_DEP_1)
	v_add_f64_e32 v[154:155], v[152:153], v[144:145]
	v_mul_f64_e32 v[144:145], s[30:31], v[92:93]
	v_fma_f64 v[152:153], v[48:49], s[8:9], v[144:145]
	s_delay_alu instid0(VALU_DEP_1) | instskip(SKIP_1) | instid1(VALU_DEP_1)
	v_add_f64_e32 v[170:171], v[152:153], v[138:139]
	v_mul_f64_e32 v[152:153], s[30:31], v[84:85]
	v_fma_f64 v[138:139], v[76:77], s[8:9], -v[152:153]
	;; [unrolled: 8-line block ×3, first 2 shown]
	s_delay_alu instid0(VALU_DEP_1)
	v_add_f64_e32 v[217:218], v[170:171], v[212:213]
	v_lshlrev_b32_e32 v171, 4, v169
	scratch_store_b128 off, v[215:218], off offset:56 ; 16-byte Folded Spill
	global_wb scope:SCOPE_SE
	s_wait_storecnt 0x0
	s_wait_kmcnt 0x0
	s_barrier_signal -1
	s_barrier_wait -1
	global_inv scope:SCOPE_SE
	ds_store_b128 v171, v[32:35]
	ds_store_b128 v171, v[172:175] offset:16
	ds_store_b128 v171, v[180:183] offset:32
	;; [unrolled: 1-line block ×10, first 2 shown]
	v_add_co_u32 v180, s33, 0x63, v214
	s_delay_alu instid0(VALU_DEP_1) | instskip(NEXT) | instid1(VALU_DEP_2)
	v_add_co_ci_u32_e64 v32, null, 0, 0, s33
	v_mul_u32_u24_e32 v32, 11, v180
	scratch_store_b32 off, v32, off offset:748 ; 4-byte Folded Spill
	s_and_saveexec_b32 s33, vcc_lo
	s_cbranch_execz .LBB0_7
; %bb.6:
	v_add_f64_e32 v[24:25], v[4:5], v[24:25]
	v_add_f64_e32 v[26:27], v[6:7], v[26:27]
	v_mul_f64_e32 v[32:33], s[16:17], v[118:119]
	v_mul_f64_e32 v[34:35], s[2:3], v[118:119]
	s_delay_alu instid0(VALU_DEP_4) | instskip(NEXT) | instid1(VALU_DEP_4)
	v_add_f64_e32 v[24:25], v[24:25], v[60:61]
	v_add_f64_e32 v[26:27], v[26:27], v[62:63]
	v_mul_f64_e32 v[62:63], s[14:15], v[94:95]
	v_mul_f64_e32 v[60:61], s[14:15], v[118:119]
	v_add_f64_e32 v[32:33], v[166:167], v[32:33]
	v_add_f64_e32 v[34:35], v[162:163], v[34:35]
	;; [unrolled: 1-line block ×4, first 2 shown]
	v_mul_f64_e32 v[70:71], s[30:31], v[98:99]
	v_add_f64_e64 v[62:63], v[62:63], -v[156:157]
	v_mul_f64_e32 v[68:69], s[18:19], v[118:119]
	v_add_f64_e32 v[60:61], v[158:159], v[60:61]
	v_add_f64_e32 v[32:33], v[6:7], v[32:33]
	;; [unrolled: 1-line block ×3, first 2 shown]
	v_mul_f64_e32 v[98:99], s[8:9], v[40:41]
	v_add_f64_e32 v[24:25], v[24:25], v[72:73]
	v_add_f64_e32 v[26:27], v[26:27], v[74:75]
	v_mul_f64_e32 v[74:75], s[18:19], v[94:95]
	v_fma_f64 v[72:73], v[94:95], s[8:9], v[70:71]
	v_fma_f64 v[70:71], v[94:95], s[8:9], -v[70:71]
	v_add_f64_e32 v[68:69], v[120:121], v[68:69]
	v_add_f64_e32 v[62:63], v[4:5], v[62:63]
	;; [unrolled: 1-line block ×3, first 2 shown]
	v_add_f64_e64 v[98:99], v[98:99], -v[106:107]
	v_mul_f64_e32 v[106:107], s[2:3], v[28:29]
	v_add_f64_e32 v[24:25], v[24:25], v[64:65]
	v_add_f64_e32 v[26:27], v[26:27], v[66:67]
	v_mul_f64_e32 v[64:65], s[2:3], v[94:95]
	v_mul_f64_e32 v[66:67], s[16:17], v[94:95]
	v_add_f64_e64 v[74:75], v[74:75], -v[96:97]
	v_add_f64_e32 v[72:73], v[4:5], v[72:73]
	v_add_f64_e32 v[70:71], v[4:5], v[70:71]
	;; [unrolled: 1-line block ×3, first 2 shown]
	v_mul_f64_e32 v[96:97], s[2:3], v[56:57]
	v_mul_f64_e32 v[94:95], s[20:21], v[100:101]
	;; [unrolled: 1-line block ×3, first 2 shown]
	v_add_f64_e64 v[106:107], v[106:107], -v[122:123]
	v_add_f64_e32 v[20:21], v[24:25], v[20:21]
	v_mul_f64_e32 v[24:25], s[8:9], v[118:119]
	v_add_f64_e32 v[22:23], v[26:27], v[22:23]
	v_add_f64_e64 v[64:65], v[64:65], -v[160:161]
	v_add_f64_e64 v[66:67], v[66:67], -v[164:165]
	v_add_f64_e32 v[74:75], v[4:5], v[74:75]
	v_mul_f64_e32 v[118:119], s[14:15], v[36:37]
	v_add_f64_e32 v[100:101], v[130:131], v[100:101]
	v_add_f64_e32 v[16:17], v[20:21], v[16:17]
	v_fma_f64 v[26:27], v[150:151], s[38:39], v[24:25]
	v_mul_f64_e32 v[20:21], s[18:19], v[44:45]
	v_fma_f64 v[24:25], v[150:151], s[30:31], v[24:25]
	v_add_f64_e32 v[64:65], v[4:5], v[64:65]
	v_add_f64_e32 v[66:67], v[4:5], v[66:67]
	v_add_f64_e32 v[18:19], v[22:23], v[18:19]
	v_mul_f64_e32 v[22:23], s[28:29], v[88:89]
	v_add_f64_e64 v[118:119], v[118:119], -v[138:139]
	v_add_f64_e32 v[16:17], v[16:17], v[12:13]
	v_add_f64_e32 v[26:27], v[6:7], v[26:27]
	v_fma_f64 v[4:5], v[80:81], s[26:27], v[20:21]
	v_add_f64_e32 v[24:25], v[6:7], v[24:25]
	s_mov_b32 s27, 0x3fe82f19
	s_mov_b32 s26, s22
	v_mul_f64_e32 v[12:13], s[16:17], v[44:45]
	v_fma_f64 v[6:7], v[28:29], s[18:19], v[22:23]
	v_add_f64_e32 v[18:19], v[18:19], v[14:15]
	v_mul_f64_e32 v[14:15], s[16:17], v[28:29]
	v_fma_f64 v[22:23], v[28:29], s[18:19], -v[22:23]
	v_fma_f64 v[20:21], v[80:81], s[28:29], v[20:21]
	v_add_f64_e32 v[4:5], v[4:5], v[26:27]
	v_mul_f64_e32 v[26:27], s[16:17], v[52:53]
	v_add_f64_e32 v[12:13], v[112:113], v[12:13]
	v_add_f64_e32 v[6:7], v[6:7], v[72:73]
	v_mul_f64_e32 v[112:113], s[8:9], v[76:77]
	v_add_f64_e64 v[14:15], v[14:15], -v[102:103]
	v_mul_f64_e32 v[102:103], s[2:3], v[48:49]
	v_add_f64_e32 v[20:21], v[20:21], v[24:25]
	v_add_f64_e32 v[22:23], v[22:23], v[70:71]
	s_wait_alu 0xfffe
	v_fma_f64 v[72:73], v[82:83], s[26:27], v[26:27]
	v_fma_f64 v[26:27], v[82:83], s[22:23], v[26:27]
	;; [unrolled: 1-line block ×3, first 2 shown]
	v_add_f64_e32 v[12:13], v[12:13], v[60:61]
	v_mul_f64_e32 v[60:61], s[18:19], v[56:57]
	v_add_f64_e32 v[112:113], v[152:153], v[112:113]
	v_add_f64_e32 v[14:15], v[14:15], v[62:63]
	v_add_f64_e64 v[102:103], v[102:103], -v[110:111]
	v_mul_f64_e32 v[62:63], s[18:19], v[36:37]
	v_mul_f64_e32 v[110:111], s[18:19], v[40:41]
	v_add_f64_e32 v[4:5], v[72:73], v[4:5]
	v_mul_f64_e32 v[72:73], s[22:23], v[90:91]
	v_add_f64_e32 v[20:21], v[26:27], v[20:21]
	v_add_f64_e32 v[60:61], v[132:133], v[60:61]
	;; [unrolled: 1-line block ×3, first 2 shown]
	v_mul_f64_e32 v[98:99], s[18:19], v[48:49]
	v_add_f64_e64 v[62:63], v[62:63], -v[108:109]
	v_mul_f64_e32 v[108:109], s[18:19], v[52:53]
	v_add_f64_e64 v[110:111], v[110:111], -v[136:137]
	v_fma_f64 v[88:89], v[40:41], s[16:17], v[72:73]
	v_add_f64_e64 v[98:99], v[98:99], -v[126:127]
	s_delay_alu instid0(VALU_DEP_4) | instskip(NEXT) | instid1(VALU_DEP_3)
	v_add_f64_e32 v[108:109], v[148:149], v[108:109]
	v_add_f64_e32 v[6:7], v[88:89], v[6:7]
	v_mul_f64_e32 v[88:89], s[14:15], v[76:77]
	s_delay_alu instid0(VALU_DEP_1) | instskip(SKIP_1) | instid1(VALU_DEP_2)
	v_fma_f64 v[90:91], v[84:85], s[24:25], v[88:89]
	v_fma_f64 v[80:81], v[84:85], s[36:37], v[88:89]
	v_add_f64_e32 v[4:5], v[90:91], v[4:5]
	v_mul_f64_e32 v[90:91], s[36:37], v[92:93]
	s_delay_alu instid0(VALU_DEP_3) | instskip(NEXT) | instid1(VALU_DEP_2)
	v_add_f64_e32 v[20:21], v[80:81], v[20:21]
	v_fma_f64 v[92:93], v[48:49], s[14:15], v[90:91]
	s_delay_alu instid0(VALU_DEP_1) | instskip(SKIP_1) | instid1(VALU_DEP_1)
	v_add_f64_e32 v[92:93], v[92:93], v[6:7]
	v_fma_f64 v[6:7], v[86:87], s[34:35], v[96:97]
	v_add_f64_e32 v[6:7], v[6:7], v[4:5]
	v_fma_f64 v[4:5], v[36:37], s[2:3], v[94:95]
	s_delay_alu instid0(VALU_DEP_1) | instskip(SKIP_1) | instid1(VALU_DEP_1)
	v_add_f64_e32 v[4:5], v[4:5], v[92:93]
	v_mul_f64_e32 v[92:93], s[8:9], v[52:53]
	v_add_f64_e32 v[92:93], v[124:125], v[92:93]
	s_delay_alu instid0(VALU_DEP_1) | instskip(SKIP_2) | instid1(VALU_DEP_3)
	v_add_f64_e32 v[12:13], v[92:93], v[12:13]
	v_add_f64_e32 v[92:93], v[102:103], v[14:15]
	v_mul_f64_e32 v[102:103], s[16:17], v[36:37]
	v_add_f64_e32 v[12:13], v[100:101], v[12:13]
	v_mul_f64_e32 v[100:101], s[16:17], v[56:57]
	s_delay_alu instid0(VALU_DEP_3) | instskip(SKIP_1) | instid1(VALU_DEP_4)
	v_add_f64_e64 v[102:103], v[102:103], -v[116:117]
	v_mul_f64_e32 v[116:117], s[14:15], v[56:57]
	v_add_f64_e32 v[14:15], v[60:61], v[12:13]
	v_add_f64_e32 v[60:61], v[18:19], v[10:11]
	v_mul_f64_e32 v[10:11], s[8:9], v[28:29]
	v_add_f64_e32 v[12:13], v[62:63], v[92:93]
	v_add_f64_e32 v[62:63], v[16:17], v[8:9]
	v_mul_f64_e32 v[8:9], s[8:9], v[44:45]
	v_mul_f64_e32 v[28:29], s[14:15], v[28:29]
	;; [unrolled: 1-line block ×5, first 2 shown]
	v_add_f64_e32 v[100:101], v[142:143], v[100:101]
	v_add_f64_e32 v[116:117], v[154:155], v[116:117]
	;; [unrolled: 1-line block ×3, first 2 shown]
	v_add_f64_e64 v[10:11], v[10:11], -v[104:105]
	v_mul_f64_e32 v[104:105], s[2:3], v[44:45]
	v_mul_f64_e32 v[44:45], s[14:15], v[44:45]
	v_add_f64_e32 v[8:9], v[128:129], v[8:9]
	v_add_f64_e64 v[28:29], v[28:29], -v[30:31]
	v_mul_f64_e32 v[30:31], s[2:3], v[52:53]
	v_add_f64_e32 v[16:17], v[134:135], v[16:17]
	v_add_f64_e64 v[18:19], v[18:19], -v[114:115]
	v_mul_f64_e32 v[114:115], s[8:9], v[48:49]
	v_fma_f64 v[52:53], v[48:49], s[14:15], -v[90:91]
	v_mul_f64_e32 v[48:49], s[16:17], v[48:49]
	v_add_f64_e32 v[92:93], v[140:141], v[92:93]
	v_add_f64_e32 v[0:1], v[62:63], v[0:1]
	;; [unrolled: 1-line block ×5, first 2 shown]
	v_fma_f64 v[46:47], v[40:41], s[16:17], -v[72:73]
	v_mul_f64_e32 v[40:41], s[2:3], v[40:41]
	v_add_f64_e32 v[30:31], v[54:55], v[30:31]
	v_add_f64_e32 v[8:9], v[8:9], v[34:35]
	;; [unrolled: 1-line block ×4, first 2 shown]
	v_add_f64_e64 v[114:115], v[114:115], -v[144:145]
	v_add_f64_e64 v[48:49], v[48:49], -v[50:51]
	v_add_f64_e32 v[10:11], v[18:19], v[10:11]
	v_add_f64_e32 v[32:33], v[104:105], v[32:33]
	;; [unrolled: 1-line block ×3, first 2 shown]
	v_mul_f64_e32 v[44:45], s[8:9], v[56:57]
	v_add_f64_e64 v[40:41], v[40:41], -v[42:43]
	v_mul_f64_e32 v[42:43], s[16:17], v[76:77]
	v_add_f64_e32 v[8:9], v[16:17], v[8:9]
	v_add_f64_e32 v[22:23], v[46:47], v[22:23]
	v_add_f64_e32 v[18:19], v[110:111], v[34:35]
	v_add_f64_e32 v[16:17], v[108:109], v[32:33]
	v_add_f64_e32 v[24:25], v[30:31], v[24:25]
	v_mul_f64_e32 v[30:31], s[8:9], v[36:37]
	v_add_f64_e32 v[26:27], v[40:41], v[28:29]
	v_add_f64_e32 v[42:43], v[78:79], v[42:43]
	;; [unrolled: 1-line block ×3, first 2 shown]
	v_fma_f64 v[28:29], v[36:37], s[2:3], -v[94:95]
	v_add_f64_e32 v[8:9], v[92:93], v[8:9]
	v_add_f64_e32 v[32:33], v[98:99], v[10:11]
	;; [unrolled: 1-line block ×6, first 2 shown]
	v_add_f64_e64 v[30:31], v[30:31], -v[38:39]
	v_add_f64_e32 v[38:39], v[48:49], v[26:27]
	v_add_f64_e32 v[24:25], v[42:43], v[24:25]
	;; [unrolled: 1-line block ×5, first 2 shown]
	v_mul_u32_u24_e32 v28, 11, v180
	s_delay_alu instid0(VALU_DEP_1)
	v_lshlrev_b32_e32 v28, 4, v28
	v_add_f64_e32 v[18:19], v[116:117], v[16:17]
	v_add_f64_e32 v[16:17], v[118:119], v[34:35]
	v_add_f64_e32 v[26:27], v[44:45], v[24:25]
	v_add_f64_e32 v[24:25], v[30:31], v[38:39]
	scratch_load_b128 v[29:32], off, off offset:40 ; 16-byte Folded Reload
	s_wait_loadcnt 0x0
	ds_store_b128 v28, v[29:32] offset:128
	scratch_load_b128 v[29:32], off, off offset:24 ; 16-byte Folded Reload
	s_wait_loadcnt 0x0
	ds_store_b128 v28, v[29:32] offset:144
	ds_store_b128 v28, v[12:15] offset:32
	;; [unrolled: 1-line block ×5, first 2 shown]
	scratch_load_b128 v[8:11], off, off offset:56 ; 16-byte Folded Reload
	s_wait_loadcnt 0x0
	ds_store_b128 v28, v[8:11] offset:112
	ds_store_b128 v28, v[4:7] offset:96
	;; [unrolled: 1-line block ×3, first 2 shown]
	ds_store_b128 v28, v[0:3]
	scratch_load_b128 v[0:3], off, off offset:8 ; 16-byte Folded Reload
	s_wait_loadcnt 0x0
	ds_store_b128 v28, v[0:3] offset:160
.LBB0_7:
	s_wait_alu 0xfffe
	s_or_b32 exec_lo, exec_lo, s33
	v_add_co_u32 v48, null, 0xc6, v214
	v_add_nc_u32_e32 v50, 0x129, v214
	global_wb scope:SCOPE_SE
	s_wait_storecnt_dscnt 0x0
	s_barrier_signal -1
	v_and_b32_e32 v49, 0xffff, v48
	s_barrier_wait -1
	v_and_b32_e32 v51, 0xffff, v50
	global_inv scope:SCOPE_SE
	v_add_nc_u32_e32 v54, 0x18c, v214
	v_mul_u32_u24_e32 v0, 0xba2f, v49
	v_add_nc_u32_e32 v52, 0x1ef, v214
	v_and_b32_e32 v92, 0xff, v214
	v_and_b32_e32 v95, 0xff, v180
	;; [unrolled: 1-line block ×3, first 2 shown]
	v_lshrrev_b32_e32 v0, 19, v0
	v_and_b32_e32 v53, 0xffff, v52
	s_mov_b32 s2, 0xe8584caa
	s_mov_b32 s3, 0x3febb67a
	;; [unrolled: 1-line block ×3, first 2 shown]
	v_mul_lo_u16 v1, v0, 11
	s_wait_alu 0xfffe
	s_mov_b32 s8, s2
	s_delay_alu instid0(VALU_DEP_1) | instskip(NEXT) | instid1(VALU_DEP_1)
	v_sub_nc_u16 v1, v48, v1
	v_lshlrev_b16 v2, 1, v1
	v_mad_u16 v0, v0, 33, v1
	s_delay_alu instid0(VALU_DEP_2) | instskip(NEXT) | instid1(VALU_DEP_2)
	v_and_b32_e32 v2, 0xffff, v2
	v_and_b32_e32 v0, 0xffff, v0
	s_delay_alu instid0(VALU_DEP_2) | instskip(SKIP_1) | instid1(VALU_DEP_3)
	v_lshlrev_b32_e32 v4, 4, v2
	v_mul_u32_u24_e32 v2, 0xba2f, v51
	v_lshlrev_b32_e32 v0, 4, v0
	s_clause 0x1
	global_load_b128 v[36:39], v4, s[0:1]
	global_load_b128 v[32:35], v4, s[0:1] offset:16
	v_lshrrev_b32_e32 v2, 19, v2
	s_delay_alu instid0(VALU_DEP_1) | instskip(NEXT) | instid1(VALU_DEP_1)
	v_mul_lo_u16 v3, v2, 11
	v_sub_nc_u16 v3, v50, v3
	s_delay_alu instid0(VALU_DEP_1) | instskip(NEXT) | instid1(VALU_DEP_1)
	v_lshlrev_b16 v4, 1, v3
	v_and_b32_e32 v4, 0xffff, v4
	s_delay_alu instid0(VALU_DEP_1) | instskip(SKIP_4) | instid1(VALU_DEP_1)
	v_lshlrev_b32_e32 v4, 4, v4
	s_clause 0x1
	global_load_b128 v[40:43], v4, s[0:1]
	global_load_b128 v[60:63], v4, s[0:1] offset:16
	v_mul_u32_u24_e32 v4, 0xba2f, v55
	v_lshrrev_b32_e32 v88, 19, v4
	s_delay_alu instid0(VALU_DEP_1) | instskip(NEXT) | instid1(VALU_DEP_1)
	v_mul_lo_u16 v4, v88, 11
	v_sub_nc_u16 v89, v54, v4
	s_delay_alu instid0(VALU_DEP_1) | instskip(NEXT) | instid1(VALU_DEP_1)
	v_lshlrev_b16 v4, 1, v89
	v_and_b32_e32 v4, 0xffff, v4
	s_delay_alu instid0(VALU_DEP_1)
	v_lshlrev_b32_e32 v4, 4, v4
	s_clause 0x1
	global_load_b128 v[56:59], v4, s[0:1]
	global_load_b128 v[44:47], v4, s[0:1] offset:16
	ds_load_b128 v[4:7], v168 offset:12672
	ds_load_b128 v[8:11], v168 offset:14256
	;; [unrolled: 1-line block ×4, first 2 shown]
	s_wait_loadcnt_dscnt 0x503
	v_mul_f64_e32 v[20:21], v[6:7], v[38:39]
	s_wait_loadcnt_dscnt 0x401
	v_mul_f64_e32 v[24:25], v[14:15], v[34:35]
	v_mul_f64_e32 v[22:23], v[4:5], v[38:39]
	;; [unrolled: 1-line block ×3, first 2 shown]
	s_clause 0x1
	scratch_store_b128 off, v[36:39], off offset:272
	scratch_store_b128 off, v[32:35], off offset:256
	s_wait_loadcnt 0x3
	v_mul_f64_e32 v[28:29], v[10:11], v[42:43]
	s_wait_loadcnt_dscnt 0x200
	v_mul_f64_e32 v[30:31], v[18:19], v[62:63]
	s_clause 0x1
	scratch_store_b128 off, v[40:43], off offset:480
	scratch_store_b128 off, v[60:63], off offset:528
	v_fma_f64 v[20:21], v[4:5], v[36:37], -v[20:21]
	v_mul_f64_e32 v[4:5], v[8:9], v[42:43]
	v_fma_f64 v[24:25], v[12:13], v[32:33], -v[24:25]
	v_mul_f64_e32 v[12:13], v[16:17], v[62:63]
	v_fma_f64 v[22:23], v[6:7], v[36:37], v[22:23]
	v_fma_f64 v[26:27], v[14:15], v[32:33], v[26:27]
	s_wait_loadcnt 0x1
	scratch_store_b128 off, v[56:59], off offset:512 ; 16-byte Folded Spill
	v_fma_f64 v[28:29], v[8:9], v[40:41], -v[28:29]
	v_fma_f64 v[30:31], v[16:17], v[60:61], -v[30:31]
	v_fma_f64 v[32:33], v[10:11], v[40:41], v[4:5]
	ds_load_b128 v[4:7], v168 offset:15840
	ds_load_b128 v[8:11], v168 offset:17424
	v_fma_f64 v[34:35], v[18:19], v[60:61], v[12:13]
	s_wait_dscnt 0x1
	v_mul_f64_e32 v[12:13], v[6:7], v[58:59]
	s_delay_alu instid0(VALU_DEP_1) | instskip(SKIP_1) | instid1(VALU_DEP_1)
	v_fma_f64 v[36:37], v[4:5], v[56:57], -v[12:13]
	v_mul_f64_e32 v[4:5], v[4:5], v[58:59]
	v_fma_f64 v[38:39], v[6:7], v[56:57], v[4:5]
	ds_load_b128 v[4:7], v168 offset:25344
	ds_load_b128 v[12:15], v168 offset:26928
	s_wait_loadcnt 0x0
	scratch_store_b128 off, v[44:47], off offset:496 ; 16-byte Folded Spill
	s_wait_dscnt 0x1
	v_mul_f64_e32 v[16:17], v[6:7], v[46:47]
	s_delay_alu instid0(VALU_DEP_1) | instskip(SKIP_1) | instid1(VALU_DEP_1)
	v_fma_f64 v[40:41], v[4:5], v[44:45], -v[16:17]
	v_mul_f64_e32 v[4:5], v[4:5], v[46:47]
	v_fma_f64 v[42:43], v[6:7], v[44:45], v[4:5]
	v_mul_u32_u24_e32 v4, 0xba2f, v53
	s_delay_alu instid0(VALU_DEP_1) | instskip(NEXT) | instid1(VALU_DEP_1)
	v_lshrrev_b32_e32 v90, 19, v4
	v_mul_lo_u16 v4, v90, 11
	s_delay_alu instid0(VALU_DEP_1) | instskip(NEXT) | instid1(VALU_DEP_1)
	v_sub_nc_u16 v91, v52, v4
	v_lshlrev_b16 v4, 1, v91
	s_delay_alu instid0(VALU_DEP_1) | instskip(NEXT) | instid1(VALU_DEP_1)
	v_and_b32_e32 v4, 0xffff, v4
	v_lshlrev_b32_e32 v4, 4, v4
	s_clause 0x1
	global_load_b128 v[44:47], v4, s[0:1]
	global_load_b128 v[16:19], v4, s[0:1] offset:16
	s_wait_loadcnt 0x1
	v_mul_f64_e32 v[4:5], v[10:11], v[46:47]
	scratch_store_b128 off, v[44:47], off offset:564 ; 16-byte Folded Spill
	s_wait_loadcnt 0x0
	scratch_store_b128 off, v[16:19], off offset:548 ; 16-byte Folded Spill
	v_fma_f64 v[76:77], v[8:9], v[44:45], -v[4:5]
	v_mul_f64_e32 v[4:5], v[8:9], v[46:47]
	s_delay_alu instid0(VALU_DEP_1) | instskip(SKIP_2) | instid1(VALU_DEP_1)
	v_fma_f64 v[78:79], v[10:11], v[44:45], v[4:5]
	s_wait_dscnt 0x0
	v_mul_f64_e32 v[4:5], v[14:15], v[18:19]
	v_fma_f64 v[80:81], v[12:13], v[16:17], -v[4:5]
	v_mul_f64_e32 v[4:5], v[12:13], v[18:19]
	s_delay_alu instid0(VALU_DEP_1) | instskip(SKIP_1) | instid1(VALU_DEP_1)
	v_fma_f64 v[82:83], v[14:15], v[16:17], v[4:5]
	v_mul_lo_u16 v4, 0x75, v92
	v_lshrrev_b16 v4, 8, v4
	s_delay_alu instid0(VALU_DEP_1) | instskip(NEXT) | instid1(VALU_DEP_1)
	v_sub_nc_u16 v5, v214, v4
	v_lshrrev_b16 v5, 1, v5
	s_delay_alu instid0(VALU_DEP_1) | instskip(NEXT) | instid1(VALU_DEP_1)
	v_and_b32_e32 v5, 0x7f, v5
	v_add_nc_u16 v4, v5, v4
	s_delay_alu instid0(VALU_DEP_1) | instskip(NEXT) | instid1(VALU_DEP_1)
	v_lshrrev_b16 v93, 3, v4
	v_mul_lo_u16 v4, v93, 11
	s_delay_alu instid0(VALU_DEP_1) | instskip(NEXT) | instid1(VALU_DEP_1)
	v_sub_nc_u16 v4, v214, v4
	v_and_b32_e32 v94, 0xff, v4
	s_delay_alu instid0(VALU_DEP_1)
	v_lshlrev_b32_e32 v4, 5, v94
	s_clause 0x1
	global_load_b128 v[14:17], v4, s[0:1]
	global_load_b128 v[44:47], v4, s[0:1] offset:16
	ds_load_b128 v[4:7], v168 offset:9504
	ds_load_b128 v[8:11], v168 offset:11088
	s_wait_loadcnt_dscnt 0x101
	v_mul_f64_e32 v[12:13], v[6:7], v[16:17]
	scratch_store_b128 off, v[14:17], off offset:604 ; 16-byte Folded Spill
	v_fma_f64 v[60:61], v[4:5], v[14:15], -v[12:13]
	v_mul_f64_e32 v[4:5], v[4:5], v[16:17]
	s_delay_alu instid0(VALU_DEP_1)
	v_fma_f64 v[62:63], v[6:7], v[14:15], v[4:5]
	ds_load_b128 v[4:7], v168 offset:19008
	ds_load_b128 v[12:15], v168 offset:20592
	s_wait_loadcnt 0x0
	scratch_store_b128 off, v[44:47], off offset:588 ; 16-byte Folded Spill
	s_wait_dscnt 0x1
	v_mul_f64_e32 v[16:17], v[6:7], v[46:47]
	s_delay_alu instid0(VALU_DEP_1) | instskip(SKIP_1) | instid1(VALU_DEP_2)
	v_fma_f64 v[64:65], v[4:5], v[44:45], -v[16:17]
	v_mul_f64_e32 v[4:5], v[4:5], v[46:47]
	v_add_f64_e32 v[84:85], v[60:61], v[64:65]
	s_delay_alu instid0(VALU_DEP_2) | instskip(SKIP_1) | instid1(VALU_DEP_1)
	v_fma_f64 v[66:67], v[6:7], v[44:45], v[4:5]
	v_mul_lo_u16 v4, 0x75, v95
	v_lshrrev_b16 v4, 8, v4
	s_delay_alu instid0(VALU_DEP_1) | instskip(NEXT) | instid1(VALU_DEP_1)
	v_sub_nc_u16 v5, v180, v4
	v_lshrrev_b16 v5, 1, v5
	s_delay_alu instid0(VALU_DEP_1) | instskip(NEXT) | instid1(VALU_DEP_1)
	v_and_b32_e32 v5, 0x7f, v5
	v_add_nc_u16 v4, v5, v4
	s_delay_alu instid0(VALU_DEP_1) | instskip(NEXT) | instid1(VALU_DEP_1)
	v_lshrrev_b16 v96, 3, v4
	v_mul_lo_u16 v4, v96, 11
	v_add_f64_e32 v[86:87], v[62:63], v[66:67]
	s_delay_alu instid0(VALU_DEP_2) | instskip(NEXT) | instid1(VALU_DEP_1)
	v_sub_nc_u16 v4, v180, v4
	v_and_b32_e32 v97, 0xff, v4
	s_delay_alu instid0(VALU_DEP_1)
	v_lshlrev_b32_e32 v4, 5, v97
	s_clause 0x1
	global_load_b128 v[44:47], v4, s[0:1]
	global_load_b128 v[16:19], v4, s[0:1] offset:16
	s_wait_loadcnt 0x1
	v_mul_f64_e32 v[4:5], v[10:11], v[46:47]
	scratch_store_b128 off, v[44:47], off offset:660 ; 16-byte Folded Spill
	s_wait_loadcnt 0x0
	scratch_store_b128 off, v[16:19], off offset:644 ; 16-byte Folded Spill
	v_fma_f64 v[68:69], v[8:9], v[44:45], -v[4:5]
	v_mul_f64_e32 v[4:5], v[8:9], v[46:47]
	v_add_f64_e32 v[46:47], v[38:39], v[42:43]
	s_delay_alu instid0(VALU_DEP_2) | instskip(SKIP_3) | instid1(VALU_DEP_2)
	v_fma_f64 v[70:71], v[10:11], v[44:45], v[4:5]
	s_wait_dscnt 0x0
	v_mul_f64_e32 v[4:5], v[14:15], v[18:19]
	v_add_f64_e32 v[44:45], v[36:37], v[40:41]
	v_fma_f64 v[72:73], v[12:13], v[16:17], -v[4:5]
	v_mul_f64_e32 v[4:5], v[12:13], v[18:19]
	v_add_f64_e32 v[12:13], v[20:21], v[24:25]
	s_delay_alu instid0(VALU_DEP_2)
	v_fma_f64 v[74:75], v[14:15], v[16:17], v[4:5]
	ds_load_b128 v[4:7], v168 offset:3168
	ds_load_b128 v[8:11], v168 offset:4752
	v_add_f64_e64 v[16:17], v[22:23], -v[26:27]
	s_wait_dscnt 0x1
	v_fma_f64 v[14:15], v[12:13], -0.5, v[4:5]
	v_add_f64_e32 v[12:13], v[22:23], v[26:27]
	v_add_f64_e32 v[4:5], v[4:5], v[20:21]
	v_add_f64_e64 v[20:21], v[20:21], -v[24:25]
	s_delay_alu instid0(VALU_DEP_3)
	v_fma_f64 v[18:19], v[12:13], -0.5, v[6:7]
	v_fma_f64 v[12:13], v[16:17], s[2:3], v[14:15]
	s_wait_alu 0xfffe
	v_fma_f64 v[16:17], v[16:17], s[8:9], v[14:15]
	v_add_f64_e32 v[6:7], v[6:7], v[22:23]
	v_add_f64_e32 v[4:5], v[4:5], v[24:25]
	v_add_f64_e64 v[24:25], v[32:33], -v[34:35]
	v_fma_f64 v[14:15], v[20:21], s[8:9], v[18:19]
	v_fma_f64 v[18:19], v[20:21], s[2:3], v[18:19]
	v_add_f64_e32 v[20:21], v[28:29], v[30:31]
	v_add_f64_e32 v[6:7], v[6:7], v[26:27]
	s_wait_dscnt 0x0
	s_delay_alu instid0(VALU_DEP_2) | instskip(SKIP_3) | instid1(VALU_DEP_3)
	v_fma_f64 v[22:23], v[20:21], -0.5, v[8:9]
	v_add_f64_e32 v[20:21], v[32:33], v[34:35]
	v_add_f64_e32 v[8:9], v[8:9], v[28:29]
	v_add_f64_e64 v[28:29], v[28:29], -v[30:31]
	v_fma_f64 v[26:27], v[20:21], -0.5, v[10:11]
	v_add_f64_e32 v[10:11], v[10:11], v[32:33]
	s_delay_alu instid0(VALU_DEP_4)
	v_add_f64_e32 v[8:9], v[8:9], v[30:31]
	v_fma_f64 v[20:21], v[24:25], s[2:3], v[22:23]
	v_fma_f64 v[24:25], v[24:25], s[8:9], v[22:23]
	;; [unrolled: 1-line block ×3, first 2 shown]
	v_add_f64_e32 v[10:11], v[10:11], v[34:35]
	v_fma_f64 v[26:27], v[28:29], s[2:3], v[26:27]
	ds_load_b128 v[28:31], v168 offset:6336
	ds_load_b128 v[32:35], v168 offset:7920
	s_wait_dscnt 0x1
	v_fma_f64 v[46:47], v[46:47], -0.5, v[30:31]
	v_add_f64_e32 v[30:31], v[30:31], v[38:39]
	v_fma_f64 v[44:45], v[44:45], -0.5, v[28:29]
	v_add_f64_e32 v[28:29], v[28:29], v[36:37]
	v_add_f64_e64 v[38:39], v[38:39], -v[42:43]
	s_delay_alu instid0(VALU_DEP_4) | instskip(SKIP_1) | instid1(VALU_DEP_4)
	v_add_f64_e32 v[30:31], v[30:31], v[42:43]
	v_add_f64_e64 v[42:43], v[36:37], -v[40:41]
	v_add_f64_e32 v[28:29], v[28:29], v[40:41]
	s_delay_alu instid0(VALU_DEP_4) | instskip(SKIP_1) | instid1(VALU_DEP_4)
	v_fma_f64 v[36:37], v[38:39], s[2:3], v[44:45]
	v_fma_f64 v[40:41], v[38:39], s[8:9], v[44:45]
	v_fma_f64 v[38:39], v[42:43], s[8:9], v[46:47]
	v_fma_f64 v[42:43], v[42:43], s[2:3], v[46:47]
	ds_load_b128 v[44:47], v168
	ds_load_b128 v[56:59], v168 offset:1584
	global_wb scope:SCOPE_SE
	s_wait_storecnt_dscnt 0x0
	s_barrier_signal -1
	s_barrier_wait -1
	global_inv scope:SCOPE_SE
	v_fma_f64 v[86:87], v[86:87], -0.5, v[46:47]
	v_add_f64_e32 v[46:47], v[46:47], v[62:63]
	v_fma_f64 v[84:85], v[84:85], -0.5, v[44:45]
	v_add_f64_e32 v[44:45], v[44:45], v[60:61]
	v_add_f64_e64 v[62:63], v[62:63], -v[66:67]
	s_delay_alu instid0(VALU_DEP_4) | instskip(SKIP_1) | instid1(VALU_DEP_4)
	v_add_f64_e32 v[46:47], v[46:47], v[66:67]
	v_add_f64_e64 v[66:67], v[60:61], -v[64:65]
	v_add_f64_e32 v[44:45], v[44:45], v[64:65]
	s_delay_alu instid0(VALU_DEP_4)
	v_fma_f64 v[60:61], v[62:63], s[2:3], v[84:85]
	v_fma_f64 v[64:65], v[62:63], s[8:9], v[84:85]
	v_add_f64_e32 v[84:85], v[68:69], v[72:73]
	v_fma_f64 v[62:63], v[66:67], s[8:9], v[86:87]
	v_fma_f64 v[66:67], v[66:67], s[2:3], v[86:87]
	v_add_f64_e32 v[86:87], v[70:71], v[74:75]
	s_delay_alu instid0(VALU_DEP_4) | instskip(SKIP_1) | instid1(VALU_DEP_3)
	v_fma_f64 v[84:85], v[84:85], -0.5, v[56:57]
	v_add_f64_e32 v[56:57], v[56:57], v[68:69]
	v_fma_f64 v[86:87], v[86:87], -0.5, v[58:59]
	v_add_f64_e32 v[58:59], v[58:59], v[70:71]
	v_add_f64_e64 v[70:71], v[70:71], -v[74:75]
	s_delay_alu instid0(VALU_DEP_4) | instskip(NEXT) | instid1(VALU_DEP_3)
	v_add_f64_e32 v[56:57], v[56:57], v[72:73]
	v_add_f64_e32 v[58:59], v[58:59], v[74:75]
	v_add_f64_e64 v[74:75], v[68:69], -v[72:73]
	s_delay_alu instid0(VALU_DEP_4) | instskip(SKIP_2) | instid1(VALU_DEP_4)
	v_fma_f64 v[68:69], v[70:71], s[2:3], v[84:85]
	v_fma_f64 v[72:73], v[70:71], s[8:9], v[84:85]
	v_add_f64_e32 v[84:85], v[76:77], v[80:81]
	v_fma_f64 v[70:71], v[74:75], s[8:9], v[86:87]
	v_fma_f64 v[74:75], v[74:75], s[2:3], v[86:87]
	v_add_f64_e32 v[86:87], v[78:79], v[82:83]
	s_delay_alu instid0(VALU_DEP_4) | instskip(SKIP_1) | instid1(VALU_DEP_3)
	v_fma_f64 v[84:85], v[84:85], -0.5, v[32:33]
	v_add_f64_e32 v[32:33], v[32:33], v[76:77]
	v_fma_f64 v[86:87], v[86:87], -0.5, v[34:35]
	v_add_f64_e32 v[34:35], v[34:35], v[78:79]
	v_add_f64_e64 v[78:79], v[78:79], -v[82:83]
	s_delay_alu instid0(VALU_DEP_4) | instskip(NEXT) | instid1(VALU_DEP_3)
	v_add_f64_e32 v[32:33], v[32:33], v[80:81]
	v_add_f64_e32 v[34:35], v[34:35], v[82:83]
	v_add_f64_e64 v[82:83], v[76:77], -v[80:81]
	s_delay_alu instid0(VALU_DEP_4) | instskip(SKIP_2) | instid1(VALU_DEP_1)
	v_fma_f64 v[76:77], v[78:79], s[2:3], v[84:85]
	v_fma_f64 v[80:81], v[78:79], s[8:9], v[84:85]
	v_and_b32_e32 v84, 0xffff, v93
	v_mul_u32_u24_e32 v84, 33, v84
	s_delay_alu instid0(VALU_DEP_1)
	v_add_lshl_u32 v84, v84, v94, 4
	ds_store_b128 v84, v[44:47]
	ds_store_b128 v84, v[60:63] offset:176
	v_and_b32_e32 v44, 0xffff, v96
	ds_store_b128 v84, v[64:67] offset:352
	v_mov_b32_e32 v175, v84
	v_mul_u32_u24_e32 v44, 33, v44
	s_delay_alu instid0(VALU_DEP_1)
	v_add_lshl_u32 v44, v44, v97, 4
	ds_store_b128 v44, v[56:59]
	ds_store_b128 v44, v[68:71] offset:176
	ds_store_b128 v44, v[72:75] offset:352
	ds_store_b128 v0, v[4:7]
	ds_store_b128 v0, v[12:15] offset:176
	scratch_store_b32 off, v0, off offset:640 ; 4-byte Folded Spill
	ds_store_b128 v0, v[16:19] offset:352
	v_mad_u16 v0, v2, 33, v3
	v_fma_f64 v[78:79], v[82:83], s[8:9], v[86:87]
	v_fma_f64 v[82:83], v[82:83], s[2:3], v[86:87]
	v_mov_b32_e32 v174, v44
	s_delay_alu instid0(VALU_DEP_4) | instskip(NEXT) | instid1(VALU_DEP_1)
	v_and_b32_e32 v0, 0xffff, v0
	v_lshlrev_b32_e32 v0, 4, v0
	ds_store_b128 v0, v[8:11]
	ds_store_b128 v0, v[20:23] offset:176
	scratch_store_b32 off, v0, off offset:620 ; 4-byte Folded Spill
	ds_store_b128 v0, v[24:27] offset:352
	v_mad_u16 v0, v88, 33, v89
	s_delay_alu instid0(VALU_DEP_1) | instskip(NEXT) | instid1(VALU_DEP_1)
	v_and_b32_e32 v0, 0xffff, v0
	v_lshlrev_b32_e32 v0, 4, v0
	ds_store_b128 v0, v[28:31]
	ds_store_b128 v0, v[36:39] offset:176
	scratch_store_b32 off, v0, off offset:584 ; 4-byte Folded Spill
	ds_store_b128 v0, v[40:43] offset:352
	v_mad_u16 v0, v90, 33, v91
	s_delay_alu instid0(VALU_DEP_1) | instskip(NEXT) | instid1(VALU_DEP_1)
	v_and_b32_e32 v0, 0xffff, v0
	v_lshlrev_b32_e32 v0, 4, v0
	ds_store_b128 v0, v[32:35]
	ds_store_b128 v0, v[76:79] offset:176
	scratch_store_b32 off, v0, off offset:580 ; 4-byte Folded Spill
	ds_store_b128 v0, v[80:83] offset:352
	v_mul_lo_u16 v0, 0xf9, v92
	global_wb scope:SCOPE_SE
	s_wait_storecnt_dscnt 0x0
	s_barrier_signal -1
	s_barrier_wait -1
	global_inv scope:SCOPE_SE
	v_lshrrev_b16 v56, 13, v0
	s_delay_alu instid0(VALU_DEP_1) | instskip(NEXT) | instid1(VALU_DEP_1)
	v_mul_lo_u16 v0, v56, 33
	v_sub_nc_u16 v0, v214, v0
	s_delay_alu instid0(VALU_DEP_1) | instskip(NEXT) | instid1(VALU_DEP_1)
	v_and_b32_e32 v57, 0xff, v0
	v_lshlrev_b32_e32 v0, 5, v57
	s_clause 0x1
	global_load_b128 v[12:15], v0, s[0:1] offset:352
	global_load_b128 v[20:23], v0, s[0:1] offset:368
	ds_load_b128 v[2:5], v168 offset:9504
	ds_load_b128 v[8:11], v168 offset:11088
	s_wait_loadcnt_dscnt 0x101
	v_mul_f64_e32 v[0:1], v[4:5], v[14:15]
	scratch_store_b128 off, v[12:15], off offset:304 ; 16-byte Folded Spill
	v_fma_f64 v[0:1], v[2:3], v[12:13], -v[0:1]
	v_mul_f64_e32 v[2:3], v[2:3], v[14:15]
	s_delay_alu instid0(VALU_DEP_1)
	v_fma_f64 v[2:3], v[4:5], v[12:13], v[2:3]
	ds_load_b128 v[12:15], v168 offset:19008
	ds_load_b128 v[16:19], v168 offset:20592
	s_wait_loadcnt 0x0
	scratch_store_b128 off, v[20:23], off offset:352 ; 16-byte Folded Spill
	s_wait_dscnt 0x1
	v_mul_f64_e32 v[4:5], v[14:15], v[22:23]
	s_delay_alu instid0(VALU_DEP_1) | instskip(SKIP_1) | instid1(VALU_DEP_1)
	v_fma_f64 v[6:7], v[12:13], v[20:21], -v[4:5]
	v_mul_f64_e32 v[4:5], v[12:13], v[22:23]
	v_fma_f64 v[12:13], v[14:15], v[20:21], v[4:5]
	v_mul_lo_u16 v4, 0xf9, v95
	s_delay_alu instid0(VALU_DEP_1) | instskip(NEXT) | instid1(VALU_DEP_1)
	v_lshrrev_b16 v58, 13, v4
	v_mul_lo_u16 v4, v58, 33
	s_delay_alu instid0(VALU_DEP_1) | instskip(NEXT) | instid1(VALU_DEP_1)
	v_sub_nc_u16 v4, v180, v4
	v_and_b32_e32 v59, 0xff, v4
	s_delay_alu instid0(VALU_DEP_1)
	v_lshlrev_b32_e32 v4, 5, v59
	s_clause 0x1
	global_load_b128 v[24:27], v4, s[0:1] offset:352
	global_load_b128 v[20:23], v4, s[0:1] offset:368
	s_wait_loadcnt 0x1
	v_mul_f64_e32 v[4:5], v[10:11], v[26:27]
	s_wait_loadcnt_dscnt 0x0
	v_mul_f64_e32 v[14:15], v[16:17], v[22:23]
	s_clause 0x1
	scratch_store_b128 off, v[24:27], off offset:416
	scratch_store_b128 off, v[20:23], off offset:400
	v_fma_f64 v[4:5], v[8:9], v[24:25], -v[4:5]
	v_mul_f64_e32 v[8:9], v[8:9], v[26:27]
	v_fma_f64 v[14:15], v[18:19], v[20:21], v[14:15]
	s_delay_alu instid0(VALU_DEP_2) | instskip(SKIP_1) | instid1(VALU_DEP_1)
	v_fma_f64 v[10:11], v[10:11], v[24:25], v[8:9]
	v_mul_f64_e32 v[8:9], v[18:19], v[22:23]
	v_fma_f64 v[8:9], v[16:17], v[20:21], -v[8:9]
	v_mul_u32_u24_e32 v16, 0xf83f, v49
	s_delay_alu instid0(VALU_DEP_1) | instskip(NEXT) | instid1(VALU_DEP_1)
	v_lshrrev_b32_e32 v60, 21, v16
	v_mul_lo_u16 v16, v60, 33
	s_delay_alu instid0(VALU_DEP_1) | instskip(NEXT) | instid1(VALU_DEP_1)
	v_sub_nc_u16 v61, v48, v16
	v_lshlrev_b16 v16, 5, v61
	s_delay_alu instid0(VALU_DEP_1) | instskip(NEXT) | instid1(VALU_DEP_1)
	v_and_b32_e32 v16, 0xffff, v16
	v_add_co_u32 v16, s14, s0, v16
	s_wait_alu 0xf1ff
	v_add_co_ci_u32_e64 v17, null, s1, 0, s14
	s_clause 0x1
	global_load_b128 v[22:25], v[16:17], off offset:352
	global_load_b128 v[34:37], v[16:17], off offset:368
	ds_load_b128 v[18:21], v168 offset:12672
	ds_load_b128 v[26:29], v168 offset:14256
	s_wait_loadcnt_dscnt 0x101
	v_mul_f64_e32 v[16:17], v[20:21], v[24:25]
	scratch_store_b128 off, v[22:25], off offset:384 ; 16-byte Folded Spill
	v_fma_f64 v[16:17], v[18:19], v[22:23], -v[16:17]
	v_mul_f64_e32 v[18:19], v[18:19], v[24:25]
	s_delay_alu instid0(VALU_DEP_1)
	v_fma_f64 v[18:19], v[20:21], v[22:23], v[18:19]
	ds_load_b128 v[22:25], v168 offset:22176
	ds_load_b128 v[30:33], v168 offset:23760
	s_wait_loadcnt 0x0
	scratch_store_b128 off, v[34:37], off offset:368 ; 16-byte Folded Spill
	s_wait_dscnt 0x1
	v_mul_f64_e32 v[20:21], v[24:25], v[36:37]
	s_delay_alu instid0(VALU_DEP_1) | instskip(SKIP_1) | instid1(VALU_DEP_1)
	v_fma_f64 v[20:21], v[22:23], v[34:35], -v[20:21]
	v_mul_f64_e32 v[22:23], v[22:23], v[36:37]
	v_fma_f64 v[24:25], v[24:25], v[34:35], v[22:23]
	v_mul_u32_u24_e32 v22, 0xf83f, v51
	s_delay_alu instid0(VALU_DEP_1) | instskip(NEXT) | instid1(VALU_DEP_1)
	v_lshrrev_b32_e32 v62, 21, v22
	v_mul_lo_u16 v22, v62, 33
	s_delay_alu instid0(VALU_DEP_1) | instskip(NEXT) | instid1(VALU_DEP_1)
	v_sub_nc_u16 v63, v50, v22
	v_lshlrev_b16 v22, 5, v63
	s_delay_alu instid0(VALU_DEP_1) | instskip(NEXT) | instid1(VALU_DEP_1)
	v_and_b32_e32 v22, 0xffff, v22
	v_add_co_u32 v22, s14, s0, v22
	s_wait_alu 0xf1ff
	v_add_co_ci_u32_e64 v23, null, s1, 0, s14
	s_clause 0x1
	global_load_b128 v[38:41], v[22:23], off offset:352
	global_load_b128 v[34:37], v[22:23], off offset:368
	s_wait_loadcnt 0x1
	v_mul_f64_e32 v[22:23], v[28:29], v[40:41]
	scratch_store_b128 off, v[38:41], off offset:464 ; 16-byte Folded Spill
	s_wait_loadcnt 0x0
	scratch_store_b128 off, v[34:37], off offset:432 ; 16-byte Folded Spill
	v_fma_f64 v[22:23], v[26:27], v[38:39], -v[22:23]
	v_mul_f64_e32 v[26:27], v[26:27], v[40:41]
	s_delay_alu instid0(VALU_DEP_1) | instskip(SKIP_2) | instid1(VALU_DEP_1)
	v_fma_f64 v[28:29], v[28:29], v[38:39], v[26:27]
	s_wait_dscnt 0x0
	v_mul_f64_e32 v[26:27], v[32:33], v[36:37]
	v_fma_f64 v[26:27], v[30:31], v[34:35], -v[26:27]
	v_mul_f64_e32 v[30:31], v[30:31], v[36:37]
	s_delay_alu instid0(VALU_DEP_1) | instskip(SKIP_1) | instid1(VALU_DEP_1)
	v_fma_f64 v[30:31], v[32:33], v[34:35], v[30:31]
	v_mul_u32_u24_e32 v32, 0xf83f, v55
	v_lshrrev_b32_e32 v64, 21, v32
	s_delay_alu instid0(VALU_DEP_1) | instskip(NEXT) | instid1(VALU_DEP_1)
	v_mul_lo_u16 v32, v64, 33
	v_sub_nc_u16 v65, v54, v32
	s_delay_alu instid0(VALU_DEP_1) | instskip(NEXT) | instid1(VALU_DEP_1)
	v_lshlrev_b16 v32, 5, v65
	v_and_b32_e32 v32, 0xffff, v32
	s_delay_alu instid0(VALU_DEP_1)
	v_add_co_u32 v32, s14, s0, v32
	s_wait_alu 0xf1ff
	v_add_co_ci_u32_e64 v33, null, s1, 0, s14
	s_clause 0x1
	global_load_b128 v[38:41], v[32:33], off offset:352
	global_load_b128 v[72:75], v[32:33], off offset:368
	ds_load_b128 v[34:37], v168 offset:15840
	ds_load_b128 v[42:45], v168 offset:17424
	s_wait_loadcnt_dscnt 0x101
	v_mul_f64_e32 v[32:33], v[36:37], v[40:41]
	scratch_store_b128 off, v[38:41], off offset:448 ; 16-byte Folded Spill
	v_fma_f64 v[32:33], v[34:35], v[38:39], -v[32:33]
	v_mul_f64_e32 v[34:35], v[34:35], v[40:41]
	s_delay_alu instid0(VALU_DEP_1)
	v_fma_f64 v[34:35], v[36:37], v[38:39], v[34:35]
	ds_load_b128 v[38:41], v168 offset:25344
	ds_load_b128 v[68:71], v168 offset:26928
	s_wait_loadcnt 0x0
	scratch_store_b128 off, v[72:75], off offset:288 ; 16-byte Folded Spill
	s_wait_dscnt 0x1
	v_mul_f64_e32 v[36:37], v[40:41], v[74:75]
	s_delay_alu instid0(VALU_DEP_1) | instskip(SKIP_1) | instid1(VALU_DEP_1)
	v_fma_f64 v[36:37], v[38:39], v[72:73], -v[36:37]
	v_mul_f64_e32 v[38:39], v[38:39], v[74:75]
	v_fma_f64 v[40:41], v[40:41], v[72:73], v[38:39]
	v_mul_u32_u24_e32 v38, 0xf83f, v53
	s_delay_alu instid0(VALU_DEP_1) | instskip(NEXT) | instid1(VALU_DEP_1)
	v_lshrrev_b32_e32 v66, 21, v38
	v_mul_lo_u16 v38, v66, 33
	s_delay_alu instid0(VALU_DEP_1) | instskip(NEXT) | instid1(VALU_DEP_1)
	v_sub_nc_u16 v67, v52, v38
	v_lshlrev_b16 v38, 5, v67
	s_delay_alu instid0(VALU_DEP_1) | instskip(NEXT) | instid1(VALU_DEP_1)
	v_and_b32_e32 v38, 0xffff, v38
	v_add_co_u32 v38, s14, s0, v38
	s_wait_alu 0xf1ff
	v_add_co_ci_u32_e64 v39, null, s1, 0, s14
	s_clause 0x1
	global_load_b128 v[76:79], v[38:39], off offset:352
	global_load_b128 v[72:75], v[38:39], off offset:368
	s_wait_loadcnt 0x1
	v_mul_f64_e32 v[38:39], v[44:45], v[78:79]
	s_wait_loadcnt_dscnt 0x0
	v_mul_f64_e32 v[46:47], v[68:69], v[74:75]
	s_clause 0x1
	scratch_store_b128 off, v[76:79], off offset:336
	scratch_store_b128 off, v[72:75], off offset:320
	v_fma_f64 v[38:39], v[42:43], v[76:77], -v[38:39]
	v_mul_f64_e32 v[42:43], v[42:43], v[78:79]
	v_fma_f64 v[46:47], v[70:71], v[72:73], v[46:47]
	v_add_f64_e32 v[78:79], v[2:3], v[12:13]
	s_delay_alu instid0(VALU_DEP_3) | instskip(SKIP_2) | instid1(VALU_DEP_3)
	v_fma_f64 v[44:45], v[44:45], v[76:77], v[42:43]
	v_mul_f64_e32 v[42:43], v[70:71], v[74:75]
	v_add_f64_e32 v[76:77], v[0:1], v[6:7]
	v_add_f64_e64 v[92:93], v[44:45], -v[46:47]
	s_delay_alu instid0(VALU_DEP_3)
	v_fma_f64 v[42:43], v[68:69], v[72:73], -v[42:43]
	ds_load_b128 v[68:71], v168
	ds_load_b128 v[72:75], v168 offset:1584
	s_wait_dscnt 0x1
	v_fma_f64 v[76:77], v[76:77], -0.5, v[68:69]
	v_add_f64_e32 v[68:69], v[68:69], v[0:1]
	v_fma_f64 v[78:79], v[78:79], -0.5, v[70:71]
	v_add_f64_e32 v[70:71], v[70:71], v[2:3]
	v_add_f64_e64 v[2:3], v[2:3], -v[12:13]
	s_delay_alu instid0(VALU_DEP_4) | instskip(SKIP_1) | instid1(VALU_DEP_4)
	v_add_f64_e32 v[68:69], v[68:69], v[6:7]
	v_add_f64_e64 v[6:7], v[0:1], -v[6:7]
	v_add_f64_e32 v[70:71], v[70:71], v[12:13]
	s_delay_alu instid0(VALU_DEP_4)
	v_fma_f64 v[0:1], v[2:3], s[2:3], v[76:77]
	v_fma_f64 v[76:77], v[2:3], s[8:9], v[76:77]
	v_add_f64_e32 v[12:13], v[10:11], v[14:15]
	v_fma_f64 v[2:3], v[6:7], s[8:9], v[78:79]
	v_fma_f64 v[78:79], v[6:7], s[2:3], v[78:79]
	v_add_f64_e32 v[6:7], v[4:5], v[8:9]
	s_wait_dscnt 0x0
	s_delay_alu instid0(VALU_DEP_4) | instskip(SKIP_2) | instid1(VALU_DEP_4)
	v_fma_f64 v[80:81], v[12:13], -0.5, v[74:75]
	v_add_f64_e32 v[12:13], v[74:75], v[10:11]
	v_add_f64_e64 v[74:75], v[10:11], -v[14:15]
	v_fma_f64 v[6:7], v[6:7], -0.5, v[72:73]
	v_add_f64_e32 v[72:73], v[72:73], v[4:5]
	s_delay_alu instid0(VALU_DEP_4) | instskip(SKIP_1) | instid1(VALU_DEP_3)
	v_add_f64_e32 v[12:13], v[12:13], v[14:15]
	v_add_f64_e32 v[14:15], v[18:19], v[24:25]
	;; [unrolled: 1-line block ×3, first 2 shown]
	v_add_f64_e64 v[8:9], v[4:5], -v[8:9]
	v_fma_f64 v[4:5], v[74:75], s[2:3], v[6:7]
	v_fma_f64 v[72:73], v[74:75], s[8:9], v[6:7]
	s_delay_alu instid0(VALU_DEP_3)
	v_fma_f64 v[6:7], v[8:9], s[8:9], v[80:81]
	v_fma_f64 v[74:75], v[8:9], s[2:3], v[80:81]
	v_add_f64_e32 v[8:9], v[16:17], v[20:21]
	ds_load_b128 v[80:83], v168 offset:3168
	ds_load_b128 v[84:87], v168 offset:4752
	s_wait_dscnt 0x1
	v_fma_f64 v[88:89], v[14:15], -0.5, v[82:83]
	v_add_f64_e32 v[14:15], v[82:83], v[18:19]
	v_add_f64_e64 v[18:19], v[18:19], -v[24:25]
	v_fma_f64 v[8:9], v[8:9], -0.5, v[80:81]
	v_add_f64_e32 v[80:81], v[80:81], v[16:17]
	s_delay_alu instid0(VALU_DEP_4) | instskip(SKIP_1) | instid1(VALU_DEP_4)
	v_add_f64_e32 v[82:83], v[14:15], v[24:25]
	v_add_f64_e32 v[24:25], v[28:29], v[30:31]
	v_fma_f64 v[14:15], v[18:19], s[2:3], v[8:9]
	v_fma_f64 v[18:19], v[18:19], s[8:9], v[8:9]
	v_add_f64_e32 v[8:9], v[22:23], v[26:27]
	v_add_f64_e32 v[80:81], v[80:81], v[20:21]
	v_add_f64_e64 v[20:21], v[16:17], -v[20:21]
	s_wait_dscnt 0x0
	s_delay_alu instid0(VALU_DEP_3) | instskip(SKIP_1) | instid1(VALU_DEP_3)
	v_fma_f64 v[8:9], v[8:9], -0.5, v[84:85]
	v_add_f64_e32 v[84:85], v[84:85], v[22:23]
	v_fma_f64 v[16:17], v[20:21], s[8:9], v[88:89]
	v_fma_f64 v[20:21], v[20:21], s[2:3], v[88:89]
	v_fma_f64 v[88:89], v[24:25], -0.5, v[86:87]
	v_add_f64_e32 v[24:25], v[86:87], v[28:29]
	v_add_f64_e64 v[86:87], v[28:29], -v[30:31]
	v_add_f64_e32 v[28:29], v[84:85], v[26:27]
	v_add_f64_e64 v[26:27], v[22:23], -v[26:27]
	s_delay_alu instid0(VALU_DEP_4) | instskip(NEXT) | instid1(VALU_DEP_4)
	v_add_f64_e32 v[30:31], v[24:25], v[30:31]
	v_fma_f64 v[22:23], v[86:87], s[2:3], v[8:9]
	v_fma_f64 v[84:85], v[86:87], s[8:9], v[8:9]
	v_add_f64_e32 v[8:9], v[32:33], v[36:37]
	v_fma_f64 v[24:25], v[26:27], s[8:9], v[88:89]
	v_fma_f64 v[86:87], v[26:27], s[2:3], v[88:89]
	v_add_f64_e32 v[26:27], v[34:35], v[40:41]
	ds_load_b128 v[88:91], v168 offset:6336
	ds_load_b128 v[140:143], v168 offset:7920
	global_wb scope:SCOPE_SE
	s_wait_storecnt_dscnt 0x0
	s_barrier_signal -1
	s_barrier_wait -1
	global_inv scope:SCOPE_SE
	v_fma_f64 v[8:9], v[8:9], -0.5, v[88:89]
	v_add_f64_e32 v[88:89], v[88:89], v[32:33]
	v_fma_f64 v[26:27], v[26:27], -0.5, v[90:91]
	v_add_f64_e32 v[90:91], v[90:91], v[34:35]
	v_add_f64_e64 v[34:35], v[34:35], -v[40:41]
	s_delay_alu instid0(VALU_DEP_4) | instskip(SKIP_1) | instid1(VALU_DEP_4)
	v_add_f64_e32 v[88:89], v[88:89], v[36:37]
	v_add_f64_e64 v[36:37], v[32:33], -v[36:37]
	v_add_f64_e32 v[90:91], v[90:91], v[40:41]
	s_delay_alu instid0(VALU_DEP_4)
	v_fma_f64 v[32:33], v[34:35], s[2:3], v[8:9]
	v_fma_f64 v[152:153], v[34:35], s[8:9], v[8:9]
	v_add_f64_e32 v[8:9], v[38:39], v[42:43]
	v_add_f64_e32 v[40:41], v[140:141], v[38:39]
	v_fma_f64 v[34:35], v[36:37], s[8:9], v[26:27]
	v_fma_f64 v[154:155], v[36:37], s[2:3], v[26:27]
	v_add_f64_e32 v[36:37], v[142:143], v[44:45]
	v_add_f64_e32 v[26:27], v[44:45], v[46:47]
	v_fma_f64 v[8:9], v[8:9], -0.5, v[140:141]
	v_add_f64_e32 v[44:45], v[40:41], v[42:43]
	v_add_f64_e64 v[42:43], v[38:39], -v[42:43]
	v_add_f64_e32 v[46:47], v[36:37], v[46:47]
	v_fma_f64 v[26:27], v[26:27], -0.5, v[142:143]
	v_fma_f64 v[36:37], v[92:93], s[2:3], v[8:9]
	v_fma_f64 v[40:41], v[92:93], s[8:9], v[8:9]
	v_and_b32_e32 v8, 0xffff, v56
	s_delay_alu instid0(VALU_DEP_1) | instskip(NEXT) | instid1(VALU_DEP_1)
	v_mul_u32_u24_e32 v8, 0x63, v8
	v_add_lshl_u32 v8, v8, v57, 4
	ds_store_b128 v8, v[68:71]
	ds_store_b128 v8, v[0:3] offset:528
	v_and_b32_e32 v0, 0xffff, v58
	scratch_store_b32 off, v8, off offset:744 ; 4-byte Folded Spill
	ds_store_b128 v8, v[76:79] offset:1056
	v_fma_f64 v[38:39], v[42:43], s[8:9], v[26:27]
	v_fma_f64 v[42:43], v[42:43], s[2:3], v[26:27]
	v_mul_u32_u24_e32 v0, 0x63, v0
	s_delay_alu instid0(VALU_DEP_1)
	v_add_lshl_u32 v0, v0, v59, 4
	ds_store_b128 v0, v[10:13]
	ds_store_b128 v0, v[4:7] offset:528
	scratch_store_b32 off, v0, off offset:740 ; 4-byte Folded Spill
	ds_store_b128 v0, v[72:75] offset:1056
	v_mad_u16 v0, 0x63, v60, v61
	s_delay_alu instid0(VALU_DEP_1) | instskip(NEXT) | instid1(VALU_DEP_1)
	v_and_b32_e32 v0, 0xffff, v0
	v_lshlrev_b32_e32 v0, 4, v0
	ds_store_b128 v0, v[80:83]
	ds_store_b128 v0, v[14:17] offset:528
	scratch_store_b32 off, v0, off offset:736 ; 4-byte Folded Spill
	ds_store_b128 v0, v[18:21] offset:1056
	v_mad_u16 v0, 0x63, v62, v63
	s_delay_alu instid0(VALU_DEP_1) | instskip(NEXT) | instid1(VALU_DEP_1)
	v_and_b32_e32 v0, 0xffff, v0
	v_lshlrev_b32_e32 v0, 4, v0
	;; [unrolled: 8-line block ×4, first 2 shown]
	ds_store_b128 v0, v[44:47]
	ds_store_b128 v0, v[36:39] offset:528
	scratch_store_b32 off, v0, off offset:716 ; 4-byte Folded Spill
	ds_store_b128 v0, v[40:43] offset:1056
	v_lshlrev_b32_e32 v0, 5, v214
	global_wb scope:SCOPE_SE
	s_wait_storecnt_dscnt 0x0
	s_barrier_signal -1
	s_barrier_wait -1
	global_inv scope:SCOPE_SE
	scratch_store_b32 off, v214, off offset:544 ; 4-byte Folded Spill
	s_clause 0x1
	global_load_b128 v[140:143], v0, s[0:1] offset:1408
	global_load_b128 v[164:167], v0, s[0:1] offset:1424
	ds_load_b128 v[1:4], v168 offset:9504
	ds_load_b128 v[5:8], v168 offset:11088
	s_wait_loadcnt_dscnt 0x101
	v_mul_f64_e32 v[9:10], v[3:4], v[142:143]
	s_delay_alu instid0(VALU_DEP_1) | instskip(SKIP_1) | instid1(VALU_DEP_1)
	v_fma_f64 v[16:17], v[1:2], v[140:141], -v[9:10]
	v_mul_f64_e32 v[1:2], v[1:2], v[142:143]
	v_fma_f64 v[18:19], v[3:4], v[140:141], v[1:2]
	ds_load_b128 v[1:4], v168 offset:19008
	ds_load_b128 v[9:12], v168 offset:20592
	s_wait_loadcnt_dscnt 0x1
	v_mul_f64_e32 v[13:14], v[3:4], v[166:167]
	s_delay_alu instid0(VALU_DEP_1) | instskip(SKIP_1) | instid1(VALU_DEP_1)
	v_fma_f64 v[20:21], v[1:2], v[164:165], -v[13:14]
	v_mul_f64_e32 v[1:2], v[1:2], v[166:167]
	v_fma_f64 v[22:23], v[3:4], v[164:165], v[1:2]
	v_mul_f64_e32 v[1:2], v[7:8], v[142:143]
	s_delay_alu instid0(VALU_DEP_1) | instskip(SKIP_1) | instid1(VALU_DEP_1)
	v_fma_f64 v[24:25], v[5:6], v[140:141], -v[1:2]
	v_mul_f64_e32 v[1:2], v[5:6], v[142:143]
	v_fma_f64 v[26:27], v[7:8], v[140:141], v[1:2]
	s_wait_dscnt 0x0
	v_mul_f64_e32 v[1:2], v[11:12], v[166:167]
	s_delay_alu instid0(VALU_DEP_1) | instskip(SKIP_1) | instid1(VALU_DEP_1)
	v_fma_f64 v[28:29], v[9:10], v[164:165], -v[1:2]
	v_mul_f64_e32 v[1:2], v[9:10], v[166:167]
	v_fma_f64 v[30:31], v[11:12], v[164:165], v[1:2]
	v_mul_u32_u24_e32 v1, 0xa57f, v49
	s_delay_alu instid0(VALU_DEP_1) | instskip(NEXT) | instid1(VALU_DEP_1)
	v_lshrrev_b32_e32 v1, 22, v1
	v_mul_lo_u16 v1, 0x63, v1
	s_delay_alu instid0(VALU_DEP_1) | instskip(NEXT) | instid1(VALU_DEP_1)
	v_sub_nc_u16 v1, v48, v1
	v_lshlrev_b16 v2, 5, v1
	v_and_b32_e32 v1, 0xffff, v1
	s_delay_alu instid0(VALU_DEP_2) | instskip(NEXT) | instid1(VALU_DEP_1)
	v_and_b32_e32 v2, 0xffff, v2
	v_add_co_u32 v2, s14, s0, v2
	s_wait_alu 0xf1ff
	v_add_co_ci_u32_e64 v3, null, s1, 0, s14
	s_clause 0x1
	global_load_b128 v[12:15], v[2:3], off offset:1408
	global_load_b128 v[32:35], v[2:3], off offset:1424
	ds_load_b128 v[2:5], v168 offset:12672
	ds_load_b128 v[6:9], v168 offset:14256
	s_wait_loadcnt_dscnt 0x101
	v_mul_f64_e32 v[10:11], v[4:5], v[14:15]
	scratch_store_b128 off, v[12:15], off offset:692 ; 16-byte Folded Spill
	v_fma_f64 v[36:37], v[2:3], v[12:13], -v[10:11]
	v_mul_f64_e32 v[2:3], v[2:3], v[14:15]
	s_delay_alu instid0(VALU_DEP_1)
	v_fma_f64 v[38:39], v[4:5], v[12:13], v[2:3]
	ds_load_b128 v[2:5], v168 offset:22176
	ds_load_b128 v[10:13], v168 offset:23760
	s_wait_loadcnt 0x0
	scratch_store_b128 off, v[32:35], off offset:676 ; 16-byte Folded Spill
	s_wait_dscnt 0x1
	v_mul_f64_e32 v[14:15], v[4:5], v[34:35]
	s_delay_alu instid0(VALU_DEP_1) | instskip(SKIP_1) | instid1(VALU_DEP_1)
	v_fma_f64 v[40:41], v[2:3], v[32:33], -v[14:15]
	v_mul_f64_e32 v[2:3], v[2:3], v[34:35]
	v_fma_f64 v[42:43], v[4:5], v[32:33], v[2:3]
	v_mul_u32_u24_e32 v2, 0xa57f, v51
	s_delay_alu instid0(VALU_DEP_1) | instskip(NEXT) | instid1(VALU_DEP_1)
	v_lshrrev_b32_e32 v2, 22, v2
	v_mul_lo_u16 v2, 0x63, v2
	s_delay_alu instid0(VALU_DEP_1) | instskip(NEXT) | instid1(VALU_DEP_1)
	v_sub_nc_u16 v2, v50, v2
	v_lshlrev_b16 v3, 5, v2
	s_delay_alu instid0(VALU_DEP_1) | instskip(NEXT) | instid1(VALU_DEP_1)
	v_and_b32_e32 v3, 0xffff, v3
	v_add_co_u32 v3, s14, s0, v3
	s_wait_alu 0xf1ff
	v_add_co_ci_u32_e64 v4, null, s1, 0, s14
	s_clause 0x1
	global_load_b128 v[196:199], v[3:4], off offset:1408
	global_load_b128 v[188:191], v[3:4], off offset:1424
	s_wait_loadcnt 0x1
	v_mul_f64_e32 v[3:4], v[8:9], v[198:199]
	s_delay_alu instid0(VALU_DEP_1) | instskip(SKIP_1) | instid1(VALU_DEP_1)
	v_fma_f64 v[44:45], v[6:7], v[196:197], -v[3:4]
	v_mul_f64_e32 v[3:4], v[6:7], v[198:199]
	v_fma_f64 v[46:47], v[8:9], v[196:197], v[3:4]
	s_wait_loadcnt_dscnt 0x0
	v_mul_f64_e32 v[3:4], v[12:13], v[190:191]
	s_delay_alu instid0(VALU_DEP_1) | instskip(SKIP_1) | instid1(VALU_DEP_1)
	v_fma_f64 v[49:50], v[10:11], v[188:189], -v[3:4]
	v_mul_f64_e32 v[3:4], v[10:11], v[190:191]
	v_fma_f64 v[56:57], v[12:13], v[188:189], v[3:4]
	v_mul_u32_u24_e32 v3, 0xa57f, v55
	s_delay_alu instid0(VALU_DEP_1) | instskip(NEXT) | instid1(VALU_DEP_1)
	v_lshrrev_b32_e32 v3, 22, v3
	v_mul_lo_u16 v3, 0x63, v3
	s_delay_alu instid0(VALU_DEP_1) | instskip(NEXT) | instid1(VALU_DEP_1)
	v_sub_nc_u16 v3, v54, v3
	v_lshlrev_b16 v4, 5, v3
	s_delay_alu instid0(VALU_DEP_1) | instskip(NEXT) | instid1(VALU_DEP_1)
	v_and_b32_e32 v4, 0xffff, v4
	v_add_co_u32 v4, s14, s0, v4
	s_wait_alu 0xf1ff
	v_add_co_ci_u32_e64 v5, null, s1, 0, s14
	s_clause 0x1
	global_load_b128 v[192:195], v[4:5], off offset:1408
	global_load_b128 v[184:187], v[4:5], off offset:1424
	ds_load_b128 v[4:7], v168 offset:15840
	ds_load_b128 v[8:11], v168 offset:17424
	s_wait_loadcnt_dscnt 0x101
	v_mul_f64_e32 v[12:13], v[6:7], v[194:195]
	s_delay_alu instid0(VALU_DEP_1) | instskip(SKIP_1) | instid1(VALU_DEP_1)
	v_fma_f64 v[61:62], v[4:5], v[192:193], -v[12:13]
	v_mul_f64_e32 v[4:5], v[4:5], v[194:195]
	v_fma_f64 v[63:64], v[6:7], v[192:193], v[4:5]
	ds_load_b128 v[4:7], v168 offset:25344
	ds_load_b128 v[12:15], v168 offset:26928
	s_wait_loadcnt_dscnt 0x1
	v_mul_f64_e32 v[32:33], v[6:7], v[186:187]
	s_delay_alu instid0(VALU_DEP_1) | instskip(SKIP_1) | instid1(VALU_DEP_2)
	v_fma_f64 v[65:66], v[4:5], v[184:185], -v[32:33]
	v_mul_f64_e32 v[4:5], v[4:5], v[186:187]
	v_add_f64_e32 v[77:78], v[61:62], v[65:66]
	s_delay_alu instid0(VALU_DEP_2) | instskip(SKIP_2) | instid1(VALU_DEP_2)
	v_fma_f64 v[67:68], v[6:7], v[184:185], v[4:5]
	v_mul_u32_u24_e32 v4, 0xa57f, v53
	v_add_f64_e32 v[53:54], v[38:39], v[42:43]
	v_lshrrev_b32_e32 v4, 22, v4
	s_delay_alu instid0(VALU_DEP_1) | instskip(NEXT) | instid1(VALU_DEP_1)
	v_mul_lo_u16 v4, 0x63, v4
	v_sub_nc_u16 v81, v52, v4
	v_add_f64_e32 v[51:52], v[36:37], v[40:41]
	s_delay_alu instid0(VALU_DEP_2) | instskip(NEXT) | instid1(VALU_DEP_1)
	v_lshlrev_b16 v4, 5, v81
	v_and_b32_e32 v4, 0xffff, v4
	s_delay_alu instid0(VALU_DEP_1)
	v_add_co_u32 v4, s14, s0, v4
	s_wait_alu 0xf1ff
	v_add_co_ci_u32_e64 v5, null, s1, 0, s14
	s_clause 0x1
	global_load_b128 v[228:231], v[4:5], off offset:1408
	global_load_b128 v[220:223], v[4:5], off offset:1424
	v_add_f64_e32 v[79:80], v[63:64], v[67:68]
	s_wait_loadcnt 0x1
	v_mul_f64_e32 v[4:5], v[10:11], v[230:231]
	s_delay_alu instid0(VALU_DEP_1) | instskip(SKIP_1) | instid1(VALU_DEP_1)
	v_fma_f64 v[69:70], v[8:9], v[228:229], -v[4:5]
	v_mul_f64_e32 v[4:5], v[8:9], v[230:231]
	v_fma_f64 v[71:72], v[10:11], v[228:229], v[4:5]
	s_wait_loadcnt_dscnt 0x0
	v_mul_f64_e32 v[4:5], v[14:15], v[222:223]
	s_delay_alu instid0(VALU_DEP_1) | instskip(SKIP_2) | instid1(VALU_DEP_2)
	v_fma_f64 v[73:74], v[12:13], v[220:221], -v[4:5]
	v_mul_f64_e32 v[4:5], v[12:13], v[222:223]
	v_add_f64_e32 v[12:13], v[16:17], v[20:21]
	v_fma_f64 v[75:76], v[14:15], v[220:221], v[4:5]
	ds_load_b128 v[4:7], v168
	ds_load_b128 v[8:11], v168 offset:1584
	s_wait_dscnt 0x1
	v_fma_f64 v[14:15], v[12:13], -0.5, v[4:5]
	v_add_f64_e32 v[12:13], v[18:19], v[22:23]
	v_add_f64_e32 v[4:5], v[4:5], v[16:17]
	s_delay_alu instid0(VALU_DEP_2) | instskip(SKIP_2) | instid1(VALU_DEP_4)
	v_fma_f64 v[32:33], v[12:13], -0.5, v[6:7]
	v_add_f64_e32 v[6:7], v[6:7], v[18:19]
	v_add_f64_e64 v[18:19], v[18:19], -v[22:23]
	v_add_f64_e32 v[4:5], v[4:5], v[20:21]
	v_add_f64_e64 v[20:21], v[16:17], -v[20:21]
	s_delay_alu instid0(VALU_DEP_4) | instskip(NEXT) | instid1(VALU_DEP_4)
	v_add_f64_e32 v[6:7], v[6:7], v[22:23]
	v_fma_f64 v[12:13], v[18:19], s[2:3], v[14:15]
	v_fma_f64 v[16:17], v[18:19], s[8:9], v[14:15]
	s_delay_alu instid0(VALU_DEP_4) | instskip(SKIP_3) | instid1(VALU_DEP_1)
	v_fma_f64 v[14:15], v[20:21], s[8:9], v[32:33]
	v_fma_f64 v[18:19], v[20:21], s[2:3], v[32:33]
	v_add_f64_e32 v[20:21], v[24:25], v[28:29]
	s_wait_dscnt 0x0
	v_fma_f64 v[22:23], v[20:21], -0.5, v[8:9]
	v_add_f64_e32 v[20:21], v[26:27], v[30:31]
	v_add_f64_e32 v[8:9], v[8:9], v[24:25]
	s_delay_alu instid0(VALU_DEP_2) | instskip(SKIP_2) | instid1(VALU_DEP_4)
	v_fma_f64 v[32:33], v[20:21], -0.5, v[10:11]
	v_add_f64_e32 v[10:11], v[10:11], v[26:27]
	v_add_f64_e64 v[26:27], v[26:27], -v[30:31]
	v_add_f64_e32 v[8:9], v[8:9], v[28:29]
	v_add_f64_e64 v[28:29], v[24:25], -v[28:29]
	s_delay_alu instid0(VALU_DEP_4) | instskip(NEXT) | instid1(VALU_DEP_4)
	v_add_f64_e32 v[10:11], v[10:11], v[30:31]
	v_fma_f64 v[20:21], v[26:27], s[2:3], v[22:23]
	v_fma_f64 v[24:25], v[26:27], s[8:9], v[22:23]
	s_delay_alu instid0(VALU_DEP_4)
	v_fma_f64 v[22:23], v[28:29], s[8:9], v[32:33]
	v_fma_f64 v[26:27], v[28:29], s[2:3], v[32:33]
	ds_load_b128 v[28:31], v168 offset:3168
	ds_load_b128 v[32:35], v168 offset:4752
	s_wait_dscnt 0x1
	v_fma_f64 v[53:54], v[53:54], -0.5, v[30:31]
	v_add_f64_e32 v[30:31], v[30:31], v[38:39]
	v_fma_f64 v[51:52], v[51:52], -0.5, v[28:29]
	v_add_f64_e32 v[28:29], v[28:29], v[36:37]
	v_add_f64_e64 v[38:39], v[38:39], -v[42:43]
	s_delay_alu instid0(VALU_DEP_4) | instskip(SKIP_1) | instid1(VALU_DEP_4)
	v_add_f64_e32 v[30:31], v[30:31], v[42:43]
	v_add_f64_e64 v[42:43], v[36:37], -v[40:41]
	v_add_f64_e32 v[28:29], v[28:29], v[40:41]
	s_delay_alu instid0(VALU_DEP_4)
	v_fma_f64 v[36:37], v[38:39], s[2:3], v[51:52]
	v_fma_f64 v[40:41], v[38:39], s[8:9], v[51:52]
	v_add_f64_e32 v[51:52], v[44:45], v[49:50]
	v_fma_f64 v[38:39], v[42:43], s[8:9], v[53:54]
	v_fma_f64 v[42:43], v[42:43], s[2:3], v[53:54]
	v_add_f64_e32 v[53:54], v[46:47], v[56:57]
	s_wait_dscnt 0x0
	s_delay_alu instid0(VALU_DEP_4) | instskip(SKIP_1) | instid1(VALU_DEP_3)
	v_fma_f64 v[51:52], v[51:52], -0.5, v[32:33]
	v_add_f64_e32 v[32:33], v[32:33], v[44:45]
	v_fma_f64 v[53:54], v[53:54], -0.5, v[34:35]
	v_add_f64_e32 v[34:35], v[34:35], v[46:47]
	v_add_f64_e64 v[46:47], v[46:47], -v[56:57]
	s_delay_alu instid0(VALU_DEP_4) | instskip(NEXT) | instid1(VALU_DEP_3)
	v_add_f64_e32 v[32:33], v[32:33], v[49:50]
	v_add_f64_e32 v[34:35], v[34:35], v[56:57]
	v_add_f64_e64 v[55:56], v[44:45], -v[49:50]
	s_delay_alu instid0(VALU_DEP_4) | instskip(SKIP_1) | instid1(VALU_DEP_3)
	v_fma_f64 v[44:45], v[46:47], s[2:3], v[51:52]
	v_fma_f64 v[49:50], v[46:47], s[8:9], v[51:52]
	;; [unrolled: 1-line block ×4, first 2 shown]
	ds_load_b128 v[53:56], v168 offset:6336
	ds_load_b128 v[57:60], v168 offset:7920
	global_wb scope:SCOPE_SE
	s_wait_storecnt_dscnt 0x0
	s_barrier_signal -1
	s_barrier_wait -1
	global_inv scope:SCOPE_SE
	ds_store_b128 v168, v[4:7]
	ds_store_b128 v168, v[12:15] offset:1584
	ds_store_b128 v168, v[8:11] offset:4752
	;; [unrolled: 1-line block ×5, first 2 shown]
	v_lshlrev_b32_e32 v4, 4, v1
	v_and_b32_e32 v1, 0xffff, v2
	ds_store_b128 v4, v[28:31] offset:9504
	ds_store_b128 v4, v[36:39] offset:11088
	v_lshlrev_b32_e32 v1, 4, v1
	scratch_store_b32 off, v4, off offset:732 ; 4-byte Folded Spill
	ds_store_b128 v4, v[40:43] offset:12672
	ds_store_b128 v1, v[32:35] offset:14256
	;; [unrolled: 1-line block ×3, first 2 shown]
	v_fma_f64 v[79:80], v[79:80], -0.5, v[55:56]
	v_add_f64_e32 v[55:56], v[55:56], v[63:64]
	v_fma_f64 v[77:78], v[77:78], -0.5, v[53:54]
	v_add_f64_e32 v[53:54], v[53:54], v[61:62]
	v_add_f64_e64 v[63:64], v[63:64], -v[67:68]
	scratch_store_b32 off, v1, off offset:724 ; 4-byte Folded Spill
	ds_store_b128 v1, v[49:52] offset:17424
	v_and_b32_e32 v1, 0xffff, v3
	s_delay_alu instid0(VALU_DEP_1) | instskip(SKIP_1) | instid1(VALU_DEP_1)
	v_lshlrev_b32_e32 v2, 4, v1
	v_and_b32_e32 v1, 0xffff, v81
	v_lshlrev_b32_e32 v1, 4, v1
	v_add_f64_e32 v[55:56], v[55:56], v[67:68]
	v_add_f64_e64 v[67:68], v[61:62], -v[65:66]
	v_add_f64_e32 v[53:54], v[53:54], v[65:66]
	v_fma_f64 v[61:62], v[63:64], s[2:3], v[77:78]
	v_fma_f64 v[65:66], v[63:64], s[8:9], v[77:78]
	v_add_f64_e32 v[77:78], v[69:70], v[73:74]
	v_fma_f64 v[63:64], v[67:68], s[8:9], v[79:80]
	v_fma_f64 v[67:68], v[67:68], s[2:3], v[79:80]
	v_add_f64_e32 v[79:80], v[71:72], v[75:76]
	ds_store_b128 v2, v[53:56] offset:19008
	ds_store_b128 v2, v[61:64] offset:20592
	v_fma_f64 v[77:78], v[77:78], -0.5, v[57:58]
	v_add_f64_e32 v[57:58], v[57:58], v[69:70]
	v_fma_f64 v[79:80], v[79:80], -0.5, v[59:60]
	v_add_f64_e32 v[59:60], v[59:60], v[71:72]
	v_add_f64_e64 v[71:72], v[71:72], -v[75:76]
	scratch_store_b32 off, v2, off offset:712 ; 4-byte Folded Spill
	v_add_f64_e32 v[57:58], v[57:58], v[73:74]
	v_add_f64_e32 v[59:60], v[59:60], v[75:76]
	v_add_f64_e64 v[75:76], v[69:70], -v[73:74]
	v_fma_f64 v[69:70], v[71:72], s[2:3], v[77:78]
	v_fma_f64 v[73:74], v[71:72], s[8:9], v[77:78]
	s_delay_alu instid0(VALU_DEP_3)
	v_fma_f64 v[71:72], v[75:76], s[8:9], v[79:80]
	v_fma_f64 v[75:76], v[75:76], s[2:3], v[79:80]
	ds_store_b128 v2, v[65:68] offset:22176
	ds_store_b128 v1, v[57:60] offset:23760
	;; [unrolled: 1-line block ×3, first 2 shown]
	scratch_store_b32 off, v1, off offset:708 ; 4-byte Folded Spill
	ds_store_b128 v1, v[73:76] offset:26928
	global_wb scope:SCOPE_SE
	s_wait_storecnt_dscnt 0x0
	s_barrier_signal -1
	s_barrier_wait -1
	global_inv scope:SCOPE_SE
	s_clause 0x1
	global_load_b128 v[176:179], v0, s[0:1] offset:4576
	global_load_b128 v[200:203], v0, s[0:1] offset:4592
	ds_load_b128 v[0:3], v168 offset:9504
	ds_load_b128 v[4:7], v168 offset:11088
	s_wait_loadcnt_dscnt 0x101
	v_mul_f64_e32 v[8:9], v[2:3], v[178:179]
	s_delay_alu instid0(VALU_DEP_1) | instskip(SKIP_1) | instid1(VALU_DEP_1)
	v_fma_f64 v[12:13], v[0:1], v[176:177], -v[8:9]
	v_mul_f64_e32 v[0:1], v[0:1], v[178:179]
	v_fma_f64 v[14:15], v[2:3], v[176:177], v[0:1]
	ds_load_b128 v[0:3], v168 offset:19008
	ds_load_b128 v[8:11], v168 offset:20592
	s_wait_loadcnt_dscnt 0x1
	v_mul_f64_e32 v[16:17], v[2:3], v[202:203]
	s_delay_alu instid0(VALU_DEP_1) | instskip(SKIP_1) | instid1(VALU_DEP_1)
	v_fma_f64 v[16:17], v[0:1], v[200:201], -v[16:17]
	v_mul_f64_e32 v[0:1], v[0:1], v[202:203]
	v_fma_f64 v[18:19], v[2:3], v[200:201], v[0:1]
	v_lshlrev_b32_e32 v0, 5, v180
	s_clause 0x1
	global_load_b128 v[216:219], v0, s[0:1] offset:4576
	global_load_b128 v[204:207], v0, s[0:1] offset:4592
	s_wait_loadcnt 0x1
	v_mul_f64_e32 v[0:1], v[6:7], v[218:219]
	s_delay_alu instid0(VALU_DEP_1) | instskip(SKIP_1) | instid1(VALU_DEP_1)
	v_fma_f64 v[20:21], v[4:5], v[216:217], -v[0:1]
	v_mul_f64_e32 v[0:1], v[4:5], v[218:219]
	v_fma_f64 v[22:23], v[6:7], v[216:217], v[0:1]
	s_wait_loadcnt_dscnt 0x0
	v_mul_f64_e32 v[0:1], v[10:11], v[206:207]
	s_delay_alu instid0(VALU_DEP_1) | instskip(SKIP_1) | instid1(VALU_DEP_1)
	v_fma_f64 v[24:25], v[8:9], v[204:205], -v[0:1]
	v_mul_f64_e32 v[0:1], v[8:9], v[206:207]
	v_fma_f64 v[26:27], v[10:11], v[204:205], v[0:1]
	v_lshlrev_b32_e32 v0, 5, v48
	s_clause 0x1
	global_load_b128 v[208:211], v0, s[0:1] offset:4576
	global_load_b128 v[212:215], v0, s[0:1] offset:4592
	ds_load_b128 v[0:3], v168 offset:12672
	ds_load_b128 v[4:7], v168 offset:14256
	s_wait_loadcnt_dscnt 0x101
	v_mul_f64_e32 v[8:9], v[2:3], v[210:211]
	s_delay_alu instid0(VALU_DEP_1) | instskip(SKIP_1) | instid1(VALU_DEP_1)
	v_fma_f64 v[32:33], v[0:1], v[208:209], -v[8:9]
	v_mul_f64_e32 v[0:1], v[0:1], v[210:211]
	v_fma_f64 v[34:35], v[2:3], v[208:209], v[0:1]
	ds_load_b128 v[0:3], v168 offset:22176
	ds_load_b128 v[8:11], v168 offset:23760
	s_wait_loadcnt_dscnt 0x1
	v_mul_f64_e32 v[28:29], v[2:3], v[214:215]
	s_delay_alu instid0(VALU_DEP_1) | instskip(SKIP_1) | instid1(VALU_DEP_2)
	v_fma_f64 v[36:37], v[0:1], v[212:213], -v[28:29]
	v_mul_f64_e32 v[0:1], v[0:1], v[214:215]
	v_add_f64_e32 v[48:49], v[32:33], v[36:37]
	s_delay_alu instid0(VALU_DEP_2) | instskip(SKIP_1) | instid1(VALU_DEP_2)
	v_fma_f64 v[38:39], v[2:3], v[212:213], v[0:1]
	v_mul_f64_e32 v[0:1], v[6:7], v[178:179]
	v_add_f64_e32 v[50:51], v[34:35], v[38:39]
	s_delay_alu instid0(VALU_DEP_2) | instskip(SKIP_1) | instid1(VALU_DEP_1)
	v_fma_f64 v[40:41], v[4:5], v[176:177], -v[0:1]
	v_mul_f64_e32 v[0:1], v[4:5], v[178:179]
	v_fma_f64 v[42:43], v[6:7], v[176:177], v[0:1]
	s_wait_dscnt 0x0
	v_mul_f64_e32 v[0:1], v[10:11], v[202:203]
	s_delay_alu instid0(VALU_DEP_1) | instskip(SKIP_1) | instid1(VALU_DEP_1)
	v_fma_f64 v[44:45], v[8:9], v[200:201], -v[0:1]
	v_mul_f64_e32 v[0:1], v[8:9], v[202:203]
	v_fma_f64 v[46:47], v[10:11], v[200:201], v[0:1]
	ds_load_b128 v[0:3], v168 offset:15840
	ds_load_b128 v[4:7], v168 offset:17424
	s_wait_dscnt 0x1
	v_mul_f64_e32 v[8:9], v[2:3], v[218:219]
	s_delay_alu instid0(VALU_DEP_1) | instskip(SKIP_1) | instid1(VALU_DEP_1)
	v_fma_f64 v[56:57], v[0:1], v[216:217], -v[8:9]
	v_mul_f64_e32 v[0:1], v[0:1], v[218:219]
	v_fma_f64 v[58:59], v[2:3], v[216:217], v[0:1]
	ds_load_b128 v[0:3], v168 offset:25344
	ds_load_b128 v[8:11], v168 offset:26928
	s_wait_dscnt 0x1
	v_mul_f64_e32 v[28:29], v[2:3], v[206:207]
	s_delay_alu instid0(VALU_DEP_1) | instskip(SKIP_1) | instid1(VALU_DEP_2)
	v_fma_f64 v[60:61], v[0:1], v[204:205], -v[28:29]
	v_mul_f64_e32 v[0:1], v[0:1], v[206:207]
	v_add_f64_e32 v[72:73], v[56:57], v[60:61]
	s_delay_alu instid0(VALU_DEP_2) | instskip(SKIP_1) | instid1(VALU_DEP_2)
	v_fma_f64 v[62:63], v[2:3], v[204:205], v[0:1]
	v_mul_f64_e32 v[0:1], v[6:7], v[210:211]
	v_add_f64_e32 v[74:75], v[58:59], v[62:63]
	s_delay_alu instid0(VALU_DEP_2) | instskip(SKIP_1) | instid1(VALU_DEP_1)
	v_fma_f64 v[64:65], v[4:5], v[208:209], -v[0:1]
	v_mul_f64_e32 v[0:1], v[4:5], v[210:211]
	v_fma_f64 v[66:67], v[6:7], v[208:209], v[0:1]
	s_wait_dscnt 0x0
	v_mul_f64_e32 v[0:1], v[10:11], v[214:215]
	s_delay_alu instid0(VALU_DEP_1) | instskip(SKIP_2) | instid1(VALU_DEP_2)
	v_fma_f64 v[68:69], v[8:9], v[212:213], -v[0:1]
	v_mul_f64_e32 v[0:1], v[8:9], v[214:215]
	v_add_f64_e32 v[8:9], v[12:13], v[16:17]
	v_fma_f64 v[70:71], v[10:11], v[212:213], v[0:1]
	ds_load_b128 v[0:3], v168
	ds_load_b128 v[4:7], v168 offset:1584
	s_wait_dscnt 0x1
	v_fma_f64 v[10:11], v[8:9], -0.5, v[0:1]
	v_add_f64_e32 v[8:9], v[14:15], v[18:19]
	v_add_f64_e32 v[0:1], v[0:1], v[12:13]
	v_add_f64_e64 v[76:77], v[66:67], -v[70:71]
	s_delay_alu instid0(VALU_DEP_3) | instskip(SKIP_4) | instid1(VALU_DEP_4)
	v_fma_f64 v[28:29], v[8:9], -0.5, v[2:3]
	v_add_f64_e32 v[2:3], v[2:3], v[14:15]
	v_add_f64_e64 v[14:15], v[14:15], -v[18:19]
	v_add_f64_e32 v[0:1], v[0:1], v[16:17]
	v_add_f64_e64 v[16:17], v[12:13], -v[16:17]
	v_add_f64_e32 v[2:3], v[2:3], v[18:19]
	s_delay_alu instid0(VALU_DEP_4) | instskip(SKIP_1) | instid1(VALU_DEP_4)
	v_fma_f64 v[8:9], v[14:15], s[2:3], v[10:11]
	v_fma_f64 v[12:13], v[14:15], s[8:9], v[10:11]
	v_fma_f64 v[10:11], v[16:17], s[8:9], v[28:29]
	v_fma_f64 v[14:15], v[16:17], s[2:3], v[28:29]
	v_add_f64_e32 v[16:17], v[20:21], v[24:25]
	s_wait_dscnt 0x0
	s_delay_alu instid0(VALU_DEP_1) | instskip(SKIP_2) | instid1(VALU_DEP_2)
	v_fma_f64 v[18:19], v[16:17], -0.5, v[4:5]
	v_add_f64_e32 v[16:17], v[22:23], v[26:27]
	v_add_f64_e32 v[4:5], v[4:5], v[20:21]
	v_fma_f64 v[28:29], v[16:17], -0.5, v[6:7]
	v_add_f64_e32 v[6:7], v[6:7], v[22:23]
	v_add_f64_e64 v[22:23], v[22:23], -v[26:27]
	s_delay_alu instid0(VALU_DEP_4) | instskip(SKIP_1) | instid1(VALU_DEP_4)
	v_add_f64_e32 v[4:5], v[4:5], v[24:25]
	v_add_f64_e64 v[24:25], v[20:21], -v[24:25]
	v_add_f64_e32 v[6:7], v[6:7], v[26:27]
	s_delay_alu instid0(VALU_DEP_4) | instskip(SKIP_1) | instid1(VALU_DEP_4)
	v_fma_f64 v[16:17], v[22:23], s[2:3], v[18:19]
	v_fma_f64 v[20:21], v[22:23], s[8:9], v[18:19]
	;; [unrolled: 1-line block ×4, first 2 shown]
	ds_load_b128 v[24:27], v168 offset:3168
	ds_load_b128 v[28:31], v168 offset:4752
	s_wait_dscnt 0x1
	v_fma_f64 v[50:51], v[50:51], -0.5, v[26:27]
	v_add_f64_e32 v[26:27], v[26:27], v[34:35]
	v_fma_f64 v[48:49], v[48:49], -0.5, v[24:25]
	v_add_f64_e32 v[24:25], v[24:25], v[32:33]
	v_add_f64_e64 v[34:35], v[34:35], -v[38:39]
	s_delay_alu instid0(VALU_DEP_4) | instskip(SKIP_1) | instid1(VALU_DEP_4)
	v_add_f64_e32 v[26:27], v[26:27], v[38:39]
	v_add_f64_e64 v[38:39], v[32:33], -v[36:37]
	v_add_f64_e32 v[24:25], v[24:25], v[36:37]
	s_delay_alu instid0(VALU_DEP_4)
	v_fma_f64 v[32:33], v[34:35], s[2:3], v[48:49]
	v_fma_f64 v[36:37], v[34:35], s[8:9], v[48:49]
	v_add_f64_e32 v[48:49], v[40:41], v[44:45]
	v_fma_f64 v[34:35], v[38:39], s[8:9], v[50:51]
	v_fma_f64 v[38:39], v[38:39], s[2:3], v[50:51]
	v_add_f64_e32 v[50:51], v[42:43], v[46:47]
	s_wait_dscnt 0x0
	s_delay_alu instid0(VALU_DEP_4) | instskip(SKIP_1) | instid1(VALU_DEP_3)
	v_fma_f64 v[48:49], v[48:49], -0.5, v[28:29]
	v_add_f64_e32 v[28:29], v[28:29], v[40:41]
	v_fma_f64 v[50:51], v[50:51], -0.5, v[30:31]
	v_add_f64_e32 v[30:31], v[30:31], v[42:43]
	v_add_f64_e64 v[42:43], v[42:43], -v[46:47]
	s_delay_alu instid0(VALU_DEP_4) | instskip(NEXT) | instid1(VALU_DEP_3)
	v_add_f64_e32 v[28:29], v[28:29], v[44:45]
	v_add_f64_e32 v[30:31], v[30:31], v[46:47]
	v_add_f64_e64 v[46:47], v[40:41], -v[44:45]
	s_delay_alu instid0(VALU_DEP_4) | instskip(SKIP_1) | instid1(VALU_DEP_3)
	v_fma_f64 v[40:41], v[42:43], s[2:3], v[48:49]
	v_fma_f64 v[44:45], v[42:43], s[8:9], v[48:49]
	;; [unrolled: 1-line block ×4, first 2 shown]
	ds_load_b128 v[48:51], v168 offset:6336
	ds_load_b128 v[52:55], v168 offset:7920
	global_wb scope:SCOPE_SE
	s_wait_dscnt 0x0
	s_barrier_signal -1
	s_barrier_wait -1
	global_inv scope:SCOPE_SE
	v_fma_f64 v[74:75], v[74:75], -0.5, v[50:51]
	v_add_f64_e32 v[50:51], v[50:51], v[58:59]
	v_fma_f64 v[72:73], v[72:73], -0.5, v[48:49]
	v_add_f64_e32 v[48:49], v[48:49], v[56:57]
	v_add_f64_e64 v[58:59], v[58:59], -v[62:63]
	s_delay_alu instid0(VALU_DEP_4) | instskip(SKIP_1) | instid1(VALU_DEP_4)
	v_add_f64_e32 v[50:51], v[50:51], v[62:63]
	v_add_f64_e64 v[62:63], v[56:57], -v[60:61]
	v_add_f64_e32 v[48:49], v[48:49], v[60:61]
	s_delay_alu instid0(VALU_DEP_4)
	v_fma_f64 v[56:57], v[58:59], s[2:3], v[72:73]
	v_fma_f64 v[60:61], v[58:59], s[8:9], v[72:73]
	v_add_f64_e32 v[72:73], v[64:65], v[68:69]
	v_fma_f64 v[58:59], v[62:63], s[8:9], v[74:75]
	v_fma_f64 v[62:63], v[62:63], s[2:3], v[74:75]
	v_add_f64_e32 v[74:75], v[66:67], v[70:71]
	s_delay_alu instid0(VALU_DEP_4) | instskip(SKIP_1) | instid1(VALU_DEP_3)
	v_fma_f64 v[72:73], v[72:73], -0.5, v[52:53]
	v_add_f64_e32 v[52:53], v[52:53], v[64:65]
	v_fma_f64 v[74:75], v[74:75], -0.5, v[54:55]
	v_add_f64_e32 v[54:55], v[54:55], v[66:67]
	s_delay_alu instid0(VALU_DEP_3) | instskip(NEXT) | instid1(VALU_DEP_2)
	v_add_f64_e32 v[52:53], v[52:53], v[68:69]
	v_add_f64_e32 v[54:55], v[54:55], v[70:71]
	v_add_f64_e64 v[70:71], v[64:65], -v[68:69]
	v_fma_f64 v[64:65], v[76:77], s[2:3], v[72:73]
	v_fma_f64 v[68:69], v[76:77], s[8:9], v[72:73]
	s_delay_alu instid0(VALU_DEP_3)
	v_fma_f64 v[66:67], v[70:71], s[8:9], v[74:75]
	v_fma_f64 v[70:71], v[70:71], s[2:3], v[74:75]
	ds_store_b128 v168, v[0:3]
	ds_store_b128 v168, v[4:7] offset:1584
	ds_store_b128 v168, v[48:51] offset:15840
	ds_store_b128 v168, v[52:55] offset:17424
	ds_store_b128 v168, v[12:15] offset:9504
	ds_store_b128 v168, v[20:23] offset:11088
	ds_store_b128 v168, v[24:27] offset:3168
	ds_store_b128 v168, v[8:11] offset:4752
	ds_store_b128 v168, v[16:19] offset:6336
	ds_store_b128 v168, v[32:35] offset:7920
	ds_store_b128 v168, v[28:31] offset:14256
	ds_store_b128 v168, v[36:39] offset:12672
	ds_store_b128 v168, v[40:43] offset:19008
	ds_store_b128 v168, v[56:59] offset:20592
	ds_store_b128 v168, v[44:47] offset:23760
	ds_store_b128 v168, v[64:67] offset:22176
	ds_store_b128 v168, v[60:63] offset:25344
	ds_store_b128 v168, v[68:71] offset:26928
	global_wb scope:SCOPE_SE
	s_wait_dscnt 0x0
	s_barrier_signal -1
	s_barrier_wait -1
	global_inv scope:SCOPE_SE
	s_clause 0x1
	global_load_b128 v[10:13], v168, s[0:1] offset:14080
	global_load_b128 v[180:183], v168, s[0:1] offset:15664
	ds_load_b128 v[0:3], v168 offset:14256
	ds_load_b128 v[20:23], v168 offset:12672
	s_wait_loadcnt_dscnt 0x101
	v_mul_f64_e32 v[4:5], v[2:3], v[12:13]
	scratch_store_b128 off, v[10:13], off offset:624 ; 16-byte Folded Spill
	v_fma_f64 v[8:9], v[0:1], v[10:11], -v[4:5]
	v_mul_f64_e32 v[0:1], v[0:1], v[12:13]
	s_delay_alu instid0(VALU_DEP_1)
	v_fma_f64 v[10:11], v[2:3], v[10:11], v[0:1]
	ds_load_b128 v[0:3], v168 offset:15840
	ds_load_b128 v[4:7], v168 offset:17424
	s_clause 0x1
	global_load_b128 v[240:243], v168, s[0:1] offset:17248
	global_load_b128 v[224:227], v168, s[0:1] offset:18832
	s_wait_loadcnt_dscnt 0x201
	v_mul_f64_e32 v[12:13], v[2:3], v[182:183]
	s_delay_alu instid0(VALU_DEP_1) | instskip(SKIP_1) | instid1(VALU_DEP_1)
	v_fma_f64 v[12:13], v[0:1], v[180:181], -v[12:13]
	v_mul_f64_e32 v[0:1], v[0:1], v[182:183]
	v_fma_f64 v[14:15], v[2:3], v[180:181], v[0:1]
	s_wait_loadcnt_dscnt 0x100
	v_mul_f64_e32 v[0:1], v[6:7], v[242:243]
	s_delay_alu instid0(VALU_DEP_1) | instskip(SKIP_1) | instid1(VALU_DEP_1)
	v_fma_f64 v[16:17], v[4:5], v[240:241], -v[0:1]
	v_mul_f64_e32 v[0:1], v[4:5], v[242:243]
	v_fma_f64 v[18:19], v[6:7], v[240:241], v[0:1]
	ds_load_b128 v[0:3], v168 offset:19008
	ds_load_b128 v[4:7], v168 offset:20592
	s_clause 0x1
	global_load_b128 v[244:247], v168, s[0:1] offset:20416
	global_load_b128 v[232:235], v168, s[0:1] offset:22000
	s_wait_loadcnt_dscnt 0x201
	v_mul_f64_e32 v[24:25], v[2:3], v[226:227]
	s_delay_alu instid0(VALU_DEP_1) | instskip(SKIP_1) | instid1(VALU_DEP_1)
	v_fma_f64 v[24:25], v[0:1], v[224:225], -v[24:25]
	v_mul_f64_e32 v[0:1], v[0:1], v[226:227]
	v_fma_f64 v[26:27], v[2:3], v[224:225], v[0:1]
	s_wait_loadcnt_dscnt 0x100
	v_mul_f64_e32 v[0:1], v[6:7], v[246:247]
	s_delay_alu instid0(VALU_DEP_1) | instskip(SKIP_1) | instid1(VALU_DEP_1)
	v_fma_f64 v[60:61], v[4:5], v[244:245], -v[0:1]
	v_mul_f64_e32 v[0:1], v[4:5], v[246:247]
	;; [unrolled: 17-line block ×3, first 2 shown]
	v_fma_f64 v[74:75], v[6:7], v[248:249], v[0:1]
	ds_load_b128 v[0:3], v168 offset:25344
	ds_load_b128 v[4:7], v168 offset:26928
	global_load_b128 v[252:255], v168, s[0:1] offset:26752
	s_add_nc_u64 s[0:1], s[12:13], 0x6f60
	s_wait_loadcnt_dscnt 0x101
	v_mul_f64_e32 v[28:29], v[2:3], v[238:239]
	s_delay_alu instid0(VALU_DEP_1) | instskip(SKIP_1) | instid1(VALU_DEP_1)
	v_fma_f64 v[76:77], v[0:1], v[236:237], -v[28:29]
	v_mul_f64_e32 v[0:1], v[0:1], v[238:239]
	v_fma_f64 v[78:79], v[2:3], v[236:237], v[0:1]
	s_wait_loadcnt_dscnt 0x0
	v_mul_f64_e32 v[0:1], v[6:7], v[254:255]
	s_delay_alu instid0(VALU_DEP_1) | instskip(SKIP_1) | instid1(VALU_DEP_1)
	v_fma_f64 v[80:81], v[4:5], v[252:253], -v[0:1]
	v_mul_f64_e32 v[0:1], v[4:5], v[254:255]
	v_fma_f64 v[82:83], v[6:7], v[252:253], v[0:1]
	ds_load_b128 v[0:3], v168
	ds_load_b128 v[4:7], v168 offset:1584
	s_wait_dscnt 0x1
	v_add_f64_e64 v[28:29], v[0:1], -v[8:9]
	v_add_f64_e64 v[30:31], v[2:3], -v[10:11]
	s_wait_dscnt 0x0
	v_add_f64_e64 v[36:37], v[4:5], -v[12:13]
	v_add_f64_e64 v[38:39], v[6:7], -v[14:15]
	s_delay_alu instid0(VALU_DEP_4) | instskip(NEXT) | instid1(VALU_DEP_4)
	v_fma_f64 v[32:33], v[0:1], 2.0, -v[28:29]
	v_fma_f64 v[34:35], v[2:3], 2.0, -v[30:31]
	s_delay_alu instid0(VALU_DEP_4) | instskip(NEXT) | instid1(VALU_DEP_4)
	v_fma_f64 v[40:41], v[4:5], 2.0, -v[36:37]
	v_fma_f64 v[42:43], v[6:7], 2.0, -v[38:39]
	ds_load_b128 v[0:3], v168 offset:3168
	ds_load_b128 v[4:7], v168 offset:4752
	s_wait_dscnt 0x1
	v_add_f64_e64 v[44:45], v[0:1], -v[16:17]
	v_add_f64_e64 v[46:47], v[2:3], -v[18:19]
	s_wait_dscnt 0x0
	v_add_f64_e64 v[52:53], v[4:5], -v[24:25]
	v_add_f64_e64 v[54:55], v[6:7], -v[26:27]
	s_delay_alu instid0(VALU_DEP_4) | instskip(NEXT) | instid1(VALU_DEP_4)
	v_fma_f64 v[48:49], v[0:1], 2.0, -v[44:45]
	v_fma_f64 v[50:51], v[2:3], 2.0, -v[46:47]
	ds_load_b128 v[0:3], v168 offset:6336
	ds_load_b128 v[8:11], v168 offset:7920
	v_fma_f64 v[56:57], v[4:5], 2.0, -v[52:53]
	v_fma_f64 v[58:59], v[6:7], 2.0, -v[54:55]
	s_wait_dscnt 0x1
	v_add_f64_e64 v[60:61], v[0:1], -v[60:61]
	s_wait_dscnt 0x0
	v_add_f64_e64 v[4:5], v[8:9], -v[68:69]
	v_add_f64_e64 v[6:7], v[10:11], -v[70:71]
	;; [unrolled: 1-line block ×3, first 2 shown]
	s_delay_alu instid0(VALU_DEP_4) | instskip(NEXT) | instid1(VALU_DEP_4)
	v_fma_f64 v[64:65], v[0:1], 2.0, -v[60:61]
	v_fma_f64 v[68:69], v[8:9], 2.0, -v[4:5]
	s_delay_alu instid0(VALU_DEP_4)
	v_fma_f64 v[70:71], v[10:11], 2.0, -v[6:7]
	ds_load_b128 v[8:11], v168 offset:9504
	ds_load_b128 v[24:27], v168 offset:11088
	v_fma_f64 v[66:67], v[2:3], 2.0, -v[62:63]
	s_wait_dscnt 0x1
	v_add_f64_e64 v[0:1], v[8:9], -v[72:73]
	v_add_f64_e64 v[2:3], v[10:11], -v[74:75]
	s_wait_dscnt 0x0
	v_add_f64_e64 v[16:17], v[24:25], -v[76:77]
	v_add_f64_e64 v[18:19], v[26:27], -v[78:79]
	s_delay_alu instid0(VALU_DEP_4) | instskip(NEXT) | instid1(VALU_DEP_4)
	v_fma_f64 v[12:13], v[8:9], 2.0, -v[0:1]
	v_fma_f64 v[14:15], v[10:11], 2.0, -v[2:3]
	s_delay_alu instid0(VALU_DEP_4) | instskip(NEXT) | instid1(VALU_DEP_4)
	v_fma_f64 v[8:9], v[24:25], 2.0, -v[16:17]
	v_fma_f64 v[10:11], v[26:27], 2.0, -v[18:19]
	v_add_f64_e64 v[24:25], v[20:21], -v[80:81]
	v_add_f64_e64 v[26:27], v[22:23], -v[82:83]
	s_delay_alu instid0(VALU_DEP_2) | instskip(NEXT) | instid1(VALU_DEP_2)
	v_fma_f64 v[20:21], v[20:21], 2.0, -v[24:25]
	v_fma_f64 v[22:23], v[22:23], 2.0, -v[26:27]
	ds_store_b128 v168, v[36:39] offset:15840
	ds_store_b128 v168, v[44:47] offset:17424
	;; [unrolled: 1-line block ×5, first 2 shown]
	ds_store_b128 v168, v[32:35]
	ds_store_b128 v168, v[40:43] offset:1584
	ds_store_b128 v168, v[48:51] offset:3168
	;; [unrolled: 1-line block ×12, first 2 shown]
	global_wb scope:SCOPE_SE
	s_wait_storecnt_dscnt 0x0
	s_barrier_signal -1
	s_barrier_wait -1
	global_inv scope:SCOPE_SE
	scratch_load_b64 v[28:29], off, off     ; 8-byte Folded Reload
	s_wait_loadcnt 0x0
	global_load_b128 v[28:31], v[28:29], off offset:28512
	ds_load_b128 v[32:35], v168
	ds_load_b128 v[36:39], v168 offset:2592
	ds_load_b128 v[44:47], v168 offset:25920
	s_wait_loadcnt_dscnt 0x2
	v_mul_f64_e32 v[40:41], v[34:35], v[30:31]
	v_mul_f64_e32 v[42:43], v[32:33], v[30:31]
	s_delay_alu instid0(VALU_DEP_2) | instskip(NEXT) | instid1(VALU_DEP_2)
	v_fma_f64 v[30:31], v[32:33], v[28:29], -v[40:41]
	v_fma_f64 v[32:33], v[34:35], v[28:29], v[42:43]
	global_load_b128 v[40:43], v168, s[0:1] offset:2592
	s_wait_loadcnt_dscnt 0x1
	v_mul_f64_e32 v[28:29], v[38:39], v[42:43]
	v_mul_f64_e32 v[42:43], v[36:37], v[42:43]
	s_delay_alu instid0(VALU_DEP_2) | instskip(NEXT) | instid1(VALU_DEP_2)
	v_fma_f64 v[34:35], v[36:37], v[40:41], -v[28:29]
	v_fma_f64 v[36:37], v[38:39], v[40:41], v[42:43]
	s_clause 0x1
	global_load_b128 v[38:41], v168, s[0:1] offset:5184
	global_load_b128 v[48:51], v168, s[0:1] offset:7776
	ds_load_b128 v[52:55], v168 offset:5184
	ds_load_b128 v[56:59], v168 offset:7776
	s_wait_loadcnt_dscnt 0x101
	v_mul_f64_e32 v[28:29], v[54:55], v[40:41]
	v_mul_f64_e32 v[42:43], v[52:53], v[40:41]
	s_delay_alu instid0(VALU_DEP_2) | instskip(NEXT) | instid1(VALU_DEP_2)
	v_fma_f64 v[40:41], v[52:53], v[38:39], -v[28:29]
	v_fma_f64 v[42:43], v[54:55], v[38:39], v[42:43]
	s_wait_loadcnt_dscnt 0x0
	v_mul_f64_e32 v[28:29], v[58:59], v[50:51]
	v_mul_f64_e32 v[38:39], v[56:57], v[50:51]
	s_delay_alu instid0(VALU_DEP_2) | instskip(NEXT) | instid1(VALU_DEP_2)
	v_fma_f64 v[50:51], v[56:57], v[48:49], -v[28:29]
	v_fma_f64 v[52:53], v[58:59], v[48:49], v[38:39]
	s_clause 0x1
	global_load_b128 v[54:57], v168, s[0:1] offset:10368
	global_load_b128 v[58:61], v168, s[0:1] offset:12960
	ds_load_b128 v[62:65], v168 offset:10368
	ds_load_b128 v[66:69], v168 offset:12960
	s_wait_loadcnt_dscnt 0x101
	v_mul_f64_e32 v[28:29], v[64:65], v[56:57]
	v_mul_f64_e32 v[38:39], v[62:63], v[56:57]
	s_delay_alu instid0(VALU_DEP_2) | instskip(NEXT) | instid1(VALU_DEP_2)
	v_fma_f64 v[62:63], v[62:63], v[54:55], -v[28:29]
	v_fma_f64 v[64:65], v[64:65], v[54:55], v[38:39]
	s_wait_loadcnt_dscnt 0x0
	v_mul_f64_e32 v[28:29], v[68:69], v[60:61]
	v_mul_f64_e32 v[38:39], v[66:67], v[60:61]
	s_delay_alu instid0(VALU_DEP_2) | instskip(NEXT) | instid1(VALU_DEP_2)
	v_fma_f64 v[54:55], v[66:67], v[58:59], -v[28:29]
	v_fma_f64 v[56:57], v[68:69], v[58:59], v[38:39]
	s_clause 0x1
	global_load_b128 v[58:61], v168, s[0:1] offset:15552
	global_load_b128 v[66:69], v168, s[0:1] offset:18144
	ds_load_b128 v[70:73], v168 offset:15552
	ds_load_b128 v[74:77], v168 offset:18144
	s_wait_loadcnt_dscnt 0x101
	v_mul_f64_e32 v[28:29], v[72:73], v[60:61]
	v_mul_f64_e32 v[38:39], v[70:71], v[60:61]
	s_delay_alu instid0(VALU_DEP_2) | instskip(NEXT) | instid1(VALU_DEP_2)
	v_fma_f64 v[70:71], v[70:71], v[58:59], -v[28:29]
	v_fma_f64 v[72:73], v[72:73], v[58:59], v[38:39]
	s_wait_loadcnt_dscnt 0x0
	v_mul_f64_e32 v[28:29], v[76:77], v[68:69]
	v_mul_f64_e32 v[38:39], v[74:75], v[68:69]
	s_delay_alu instid0(VALU_DEP_2) | instskip(NEXT) | instid1(VALU_DEP_2)
	v_fma_f64 v[58:59], v[74:75], v[66:67], -v[28:29]
	v_fma_f64 v[60:61], v[76:77], v[66:67], v[38:39]
	s_clause 0x1
	global_load_b128 v[66:69], v168, s[0:1] offset:20736
	global_load_b128 v[74:77], v168, s[0:1] offset:23328
	ds_load_b128 v[78:81], v168 offset:20736
	ds_load_b128 v[82:85], v168 offset:23328
	s_wait_loadcnt_dscnt 0x101
	v_mul_f64_e32 v[28:29], v[80:81], v[68:69]
	v_mul_f64_e32 v[38:39], v[78:79], v[68:69]
	s_delay_alu instid0(VALU_DEP_2) | instskip(NEXT) | instid1(VALU_DEP_2)
	v_fma_f64 v[78:79], v[78:79], v[66:67], -v[28:29]
	v_fma_f64 v[80:81], v[80:81], v[66:67], v[38:39]
	s_wait_loadcnt_dscnt 0x0
	v_mul_f64_e32 v[28:29], v[84:85], v[76:77]
	v_mul_f64_e32 v[38:39], v[82:83], v[76:77]
	s_delay_alu instid0(VALU_DEP_2) | instskip(NEXT) | instid1(VALU_DEP_2)
	v_fma_f64 v[66:67], v[82:83], v[74:75], -v[28:29]
	v_fma_f64 v[68:69], v[84:85], v[74:75], v[38:39]
	global_load_b128 v[74:77], v168, s[0:1] offset:25920
	s_wait_loadcnt 0x0
	v_mul_f64_e32 v[28:29], v[46:47], v[76:77]
	v_mul_f64_e32 v[38:39], v[44:45], v[76:77]
	s_delay_alu instid0(VALU_DEP_2) | instskip(NEXT) | instid1(VALU_DEP_2)
	v_fma_f64 v[44:45], v[44:45], v[74:75], -v[28:29]
	v_fma_f64 v[46:47], v[46:47], v[74:75], v[38:39]
	ds_store_b128 v168, v[30:33]
	ds_store_b128 v168, v[34:37] offset:2592
	ds_store_b128 v168, v[40:43] offset:5184
	;; [unrolled: 1-line block ×10, first 2 shown]
	s_and_saveexec_b32 s2, vcc_lo
	s_cbranch_execz .LBB0_9
; %bb.8:
	s_wait_alu 0xfffe
	v_add_co_u32 v68, s0, s0, v168
	s_wait_alu 0xf1ff
	v_add_co_ci_u32_e64 v69, null, s1, 0, s0
	s_clause 0xa
	global_load_b128 v[28:31], v[68:69], off offset:1584
	global_load_b128 v[32:35], v[68:69], off offset:4176
	;; [unrolled: 1-line block ×11, first 2 shown]
	ds_load_b128 v[72:75], v168 offset:1584
	ds_load_b128 v[76:79], v168 offset:4176
	;; [unrolled: 1-line block ×3, first 2 shown]
	s_wait_loadcnt_dscnt 0xa02
	v_mul_f64_e32 v[84:85], v[74:75], v[30:31]
	v_mul_f64_e32 v[30:31], v[72:73], v[30:31]
	s_wait_loadcnt_dscnt 0x901
	v_mul_f64_e32 v[86:87], v[78:79], v[34:35]
	v_mul_f64_e32 v[34:35], v[76:77], v[34:35]
	s_delay_alu instid0(VALU_DEP_4) | instskip(NEXT) | instid1(VALU_DEP_4)
	v_fma_f64 v[72:73], v[72:73], v[28:29], -v[84:85]
	v_fma_f64 v[74:75], v[74:75], v[28:29], v[30:31]
	ds_load_b128 v[28:31], v168 offset:9360
	s_wait_loadcnt_dscnt 0x801
	v_mul_f64_e32 v[84:85], v[82:83], v[38:39]
	v_mul_f64_e32 v[38:39], v[80:81], v[38:39]
	v_fma_f64 v[76:77], v[76:77], v[32:33], -v[86:87]
	v_fma_f64 v[78:79], v[78:79], v[32:33], v[34:35]
	ds_load_b128 v[32:35], v168 offset:11952
	s_wait_loadcnt_dscnt 0x701
	v_mul_f64_e32 v[86:87], v[30:31], v[42:43]
	v_mul_f64_e32 v[42:43], v[28:29], v[42:43]
	;; [unrolled: 6-line block ×8, first 2 shown]
	v_fma_f64 v[48:49], v[48:49], v[60:61], -v[84:85]
	v_fma_f64 v[50:51], v[50:51], v[60:61], v[62:63]
	s_wait_loadcnt_dscnt 0x0
	v_mul_f64_e32 v[60:61], v[58:59], v[70:71]
	v_mul_f64_e32 v[62:63], v[56:57], v[70:71]
	v_fma_f64 v[52:53], v[52:53], v[64:65], -v[86:87]
	v_fma_f64 v[54:55], v[54:55], v[64:65], v[66:67]
	s_delay_alu instid0(VALU_DEP_4) | instskip(NEXT) | instid1(VALU_DEP_4)
	v_fma_f64 v[56:57], v[56:57], v[68:69], -v[60:61]
	v_fma_f64 v[58:59], v[58:59], v[68:69], v[62:63]
	ds_store_b128 v168, v[72:75] offset:1584
	ds_store_b128 v168, v[76:79] offset:4176
	;; [unrolled: 1-line block ×11, first 2 shown]
.LBB0_9:
	s_wait_alu 0xfffe
	s_or_b32 exec_lo, exec_lo, s2
	global_wb scope:SCOPE_SE
	s_wait_dscnt 0x0
	s_barrier_signal -1
	s_barrier_wait -1
	global_inv scope:SCOPE_SE
	ds_load_b128 v[44:47], v168
	ds_load_b128 v[56:59], v168 offset:2592
	ds_load_b128 v[36:39], v168 offset:5184
	;; [unrolled: 1-line block ×10, first 2 shown]
	s_and_saveexec_b32 s0, vcc_lo
	s_cbranch_execz .LBB0_11
; %bb.10:
	ds_load_b128 v[4:7], v168 offset:1584
	ds_load_b128 v[12:15], v168 offset:4176
	;; [unrolled: 1-line block ×8, first 2 shown]
	s_wait_dscnt 0x0
	scratch_store_b128 off, v[72:75], off offset:56 ; 16-byte Folded Spill
	ds_load_b128 v[72:75], v168 offset:22320
	s_wait_dscnt 0x0
	scratch_store_b128 off, v[72:75], off offset:40 ; 16-byte Folded Spill
	ds_load_b128 v[72:75], v168 offset:24912
	;; [unrolled: 3-line block ×3, first 2 shown]
	s_wait_dscnt 0x0
	scratch_store_b128 off, v[72:75], off offset:8 ; 16-byte Folded Spill
.LBB0_11:
	s_wait_alu 0xfffe
	s_or_b32 exec_lo, exec_lo, s0
	s_wait_dscnt 0x9
	v_add_f64_e32 v[72:73], v[44:45], v[56:57]
	v_add_f64_e32 v[74:75], v[46:47], v[58:59]
	s_wait_dscnt 0x0
	v_add_f64_e64 v[76:77], v[58:59], -v[30:31]
	s_mov_b32 s24, 0xf8bb580b
	s_mov_b32 s20, 0x8eee2c13
	;; [unrolled: 1-line block ×10, first 2 shown]
	v_add_f64_e32 v[104:105], v[70:71], v[66:67]
	v_add_f64_e64 v[106:107], v[70:71], -v[66:67]
	v_add_f64_e32 v[80:81], v[56:57], v[28:29]
	v_add_f64_e32 v[58:59], v[58:59], v[30:31]
	s_mov_b32 s2, 0x8764f0ba
	s_mov_b32 s22, 0xd9c712b6
	;; [unrolled: 1-line block ×10, first 2 shown]
	v_add_f64_e32 v[169:170], v[62:63], v[54:55]
	v_add_f64_e64 v[108:109], v[62:63], -v[54:55]
	v_add_f64_e64 v[56:57], v[56:57], -v[28:29]
	s_wait_alu 0xfffe
	s_mov_b32 s34, s18
	v_add_f64_e64 v[138:139], v[38:39], -v[34:35]
	s_mov_b32 s31, 0x3fe14ced
	s_mov_b32 s27, 0x3fed1bb4
	;; [unrolled: 1-line block ×6, first 2 shown]
	v_add_f64_e32 v[72:73], v[72:73], v[36:37]
	v_add_f64_e32 v[74:75], v[74:75], v[38:39]
	v_mul_f64_e32 v[82:83], s[24:25], v[76:77]
	v_mul_f64_e32 v[84:85], s[14:15], v[76:77]
	s_mov_b32 s36, s14
	s_mov_b32 s28, s0
	v_add_f64_e64 v[132:133], v[42:43], -v[50:51]
	v_add_f64_e32 v[144:145], v[38:39], v[34:35]
	global_wb scope:SCOPE_SE
	s_wait_storecnt 0x0
	s_barrier_signal -1
	s_barrier_wait -1
	global_inv scope:SCOPE_SE
	v_mul_f64_e32 v[146:147], s[8:9], v[104:105]
	s_wait_alu 0xfffe
	v_mul_f64_e32 v[148:149], s[30:31], v[106:107]
	v_mul_f64_e32 v[152:153], s[12:13], v[104:105]
	v_mul_f64_e32 v[98:99], s[12:13], v[58:59]
	v_mul_f64_e32 v[172:173], s[16:17], v[104:105]
	v_mul_f64_e32 v[154:155], s[34:35], v[138:139]
	v_add_f64_e32 v[72:73], v[72:73], v[40:41]
	v_add_f64_e32 v[74:75], v[74:75], v[42:43]
	v_fma_f64 v[94:95], v[80:81], s[12:13], v[84:85]
	v_fma_f64 v[84:85], v[80:81], s[12:13], -v[84:85]
	v_fma_f64 v[114:115], v[56:57], s[36:37], v[98:99]
	v_fma_f64 v[98:99], v[56:57], s[14:15], v[98:99]
	v_add_f64_e32 v[72:73], v[72:73], v[60:61]
	v_add_f64_e32 v[74:75], v[74:75], v[62:63]
	v_fma_f64 v[62:63], v[80:81], s[2:3], v[82:83]
	v_fma_f64 v[82:83], v[80:81], s[2:3], -v[82:83]
	v_add_f64_e32 v[128:129], v[44:45], v[94:95]
	v_add_f64_e32 v[114:115], v[46:47], v[114:115]
	;; [unrolled: 1-line block ×5, first 2 shown]
	v_add_f64_e64 v[68:69], v[68:69], -v[64:65]
	v_add_f64_e32 v[70:71], v[60:61], v[52:53]
	v_add_f64_e64 v[60:61], v[60:61], -v[52:53]
	v_add_f64_e32 v[120:121], v[44:45], v[62:63]
	v_add_f64_e32 v[62:63], v[44:45], v[84:85]
	v_mul_f64_e32 v[84:85], s[22:23], v[144:145]
	v_add_f64_e32 v[64:65], v[78:79], v[64:65]
	v_add_f64_e32 v[66:67], v[74:75], v[66:67]
	v_mul_f64_e32 v[74:75], s[20:21], v[76:77]
	v_mul_f64_e32 v[78:79], s[18:19], v[76:77]
	;; [unrolled: 1-line block ×3, first 2 shown]
	v_add_f64_e32 v[86:87], v[64:65], v[52:53]
	v_add_f64_e32 v[92:93], v[66:67], v[54:55]
	v_fma_f64 v[64:65], v[80:81], s[22:23], v[74:75]
	v_fma_f64 v[66:67], v[80:81], s[22:23], -v[74:75]
	v_fma_f64 v[74:75], v[80:81], s[16:17], v[78:79]
	v_fma_f64 v[78:79], v[80:81], s[16:17], -v[78:79]
	;; [unrolled: 2-line block ×3, first 2 shown]
	v_mul_f64_e32 v[80:81], s[16:17], v[58:59]
	v_mul_f64_e32 v[52:53], s[2:3], v[58:59]
	;; [unrolled: 1-line block ×4, first 2 shown]
	v_add_f64_e32 v[134:135], v[86:87], v[48:49]
	v_mul_f64_e32 v[86:87], s[20:21], v[138:139]
	v_add_f64_e32 v[122:123], v[44:45], v[64:65]
	v_add_f64_e32 v[64:65], v[46:47], v[98:99]
	;; [unrolled: 1-line block ×6, first 2 shown]
	v_fma_f64 v[112:113], v[56:57], s[34:35], v[80:81]
	v_fma_f64 v[80:81], v[56:57], s[18:19], v[80:81]
	;; [unrolled: 1-line block ×8, first 2 shown]
	v_add_f64_e32 v[54:55], v[44:45], v[82:83]
	v_add_f64_e32 v[56:57], v[44:45], v[78:79]
	v_add_f64_e64 v[78:79], v[36:37], -v[32:33]
	v_mul_f64_e32 v[82:83], s[18:19], v[132:133]
	v_add_f64_e32 v[66:67], v[44:45], v[76:77]
	v_add_f64_e64 v[44:45], v[40:41], -v[48:49]
	v_add_f64_e32 v[136:137], v[92:93], v[50:51]
	v_mul_f64_e32 v[48:49], s[12:13], v[169:170]
	v_mul_f64_e32 v[96:97], s[12:13], v[144:145]
	;; [unrolled: 1-line block ×3, first 2 shown]
	v_add_f64_e32 v[112:113], v[46:47], v[112:113]
	v_add_f64_e32 v[58:59], v[46:47], v[80:81]
	;; [unrolled: 1-line block ×10, first 2 shown]
	v_fma_f64 v[38:39], v[78:79], s[26:27], v[84:85]
	v_fma_f64 v[40:41], v[74:75], s[16:17], v[82:83]
	v_mul_f64_e32 v[50:51], s[14:15], v[108:109]
	v_fma_f64 v[92:93], v[78:79], s[36:37], v[96:97]
	v_fma_f64 v[94:95], v[74:75], s[8:9], v[98:99]
	;; [unrolled: 1-line block ×3, first 2 shown]
	v_fma_f64 v[98:99], v[74:75], s[8:9], -v[98:99]
	v_fma_f64 v[36:37], v[80:81], s[22:23], v[86:87]
	v_mul_f64_e32 v[76:77], s[16:17], v[118:119]
	v_add_f64_e32 v[38:39], v[38:39], v[100:101]
	v_mul_f64_e32 v[100:101], s[8:9], v[118:119]
	v_add_f64_e32 v[92:93], v[92:93], v[102:103]
	;; [unrolled: 2-line block ×4, first 2 shown]
	v_mul_f64_e32 v[120:121], s[0:1], v[106:107]
	s_delay_alu instid0(VALU_DEP_2) | instskip(SKIP_1) | instid1(VALU_DEP_1)
	v_add_f64_e32 v[36:37], v[40:41], v[36:37]
	v_fma_f64 v[40:41], v[44:45], s[34:35], v[76:77]
	v_add_f64_e32 v[38:39], v[40:41], v[38:39]
	v_fma_f64 v[40:41], v[70:71], s[12:13], v[50:51]
	v_fma_f64 v[50:51], v[70:71], s[12:13], -v[50:51]
	s_delay_alu instid0(VALU_DEP_2) | instskip(SKIP_2) | instid1(VALU_DEP_2)
	v_add_f64_e32 v[36:37], v[40:41], v[36:37]
	v_fma_f64 v[40:41], v[60:61], s[36:37], v[48:49]
	v_fma_f64 v[48:49], v[60:61], s[14:15], v[48:49]
	v_add_f64_e32 v[38:39], v[40:41], v[38:39]
	v_fma_f64 v[40:41], v[72:73], s[8:9], v[120:121]
	s_delay_alu instid0(VALU_DEP_1) | instskip(SKIP_1) | instid1(VALU_DEP_1)
	v_add_f64_e32 v[36:37], v[40:41], v[36:37]
	v_fma_f64 v[40:41], v[68:69], s[28:29], v[146:147]
	v_add_f64_e32 v[38:39], v[40:41], v[38:39]
	v_mul_f64_e32 v[40:41], s[14:15], v[138:139]
	s_delay_alu instid0(VALU_DEP_1) | instskip(SKIP_1) | instid1(VALU_DEP_2)
	v_fma_f64 v[42:43], v[80:81], s[12:13], v[40:41]
	v_fma_f64 v[40:41], v[80:81], s[12:13], -v[40:41]
	v_add_f64_e32 v[42:43], v[42:43], v[122:123]
	s_delay_alu instid0(VALU_DEP_2) | instskip(SKIP_2) | instid1(VALU_DEP_4)
	v_add_f64_e32 v[40:41], v[40:41], v[124:125]
	v_mul_f64_e32 v[122:123], s[16:17], v[169:170]
	v_mul_f64_e32 v[124:125], s[22:23], v[118:119]
	v_add_f64_e32 v[42:43], v[94:95], v[42:43]
	v_fma_f64 v[94:95], v[44:45], s[0:1], v[100:101]
	v_add_f64_e32 v[40:41], v[98:99], v[40:41]
	v_fma_f64 v[98:99], v[44:45], s[28:29], v[100:101]
	s_delay_alu instid0(VALU_DEP_3) | instskip(SKIP_1) | instid1(VALU_DEP_3)
	v_add_f64_e32 v[92:93], v[94:95], v[92:93]
	v_fma_f64 v[94:95], v[70:71], s[16:17], v[102:103]
	v_add_f64_e32 v[96:97], v[98:99], v[96:97]
	v_fma_f64 v[98:99], v[70:71], s[16:17], -v[102:103]
	s_delay_alu instid0(VALU_DEP_3) | instskip(SKIP_1) | instid1(VALU_DEP_3)
	v_add_f64_e32 v[42:43], v[94:95], v[42:43]
	v_fma_f64 v[94:95], v[60:61], s[18:19], v[122:123]
	v_add_f64_e32 v[40:41], v[98:99], v[40:41]
	v_fma_f64 v[98:99], v[60:61], s[34:35], v[122:123]
	v_mul_f64_e32 v[122:123], s[8:9], v[144:145]
	s_delay_alu instid0(VALU_DEP_4) | instskip(SKIP_1) | instid1(VALU_DEP_4)
	v_add_f64_e32 v[94:95], v[94:95], v[92:93]
	v_fma_f64 v[92:93], v[72:73], s[2:3], v[148:149]
	v_add_f64_e32 v[96:97], v[98:99], v[96:97]
	v_fma_f64 v[98:99], v[72:73], s[2:3], -v[148:149]
	v_mul_f64_e32 v[148:149], s[2:3], v[169:170]
	s_delay_alu instid0(VALU_DEP_4) | instskip(SKIP_1) | instid1(VALU_DEP_4)
	v_add_f64_e32 v[92:93], v[92:93], v[42:43]
	v_mul_f64_e32 v[42:43], s[2:3], v[104:105]
	v_add_f64_e32 v[40:41], v[98:99], v[40:41]
	v_fma_f64 v[98:99], v[78:79], s[0:1], v[122:123]
	s_delay_alu instid0(VALU_DEP_3) | instskip(SKIP_1) | instid1(VALU_DEP_3)
	v_fma_f64 v[150:151], v[68:69], s[24:25], v[42:43]
	v_fma_f64 v[42:43], v[68:69], s[30:31], v[42:43]
	v_add_f64_e32 v[98:99], v[98:99], v[112:113]
	v_mul_f64_e32 v[112:113], s[26:27], v[132:133]
	s_delay_alu instid0(VALU_DEP_4) | instskip(NEXT) | instid1(VALU_DEP_4)
	v_add_f64_e32 v[94:95], v[150:151], v[94:95]
	v_add_f64_e32 v[42:43], v[42:43], v[96:97]
	v_fma_f64 v[96:97], v[80:81], s[8:9], v[110:111]
	s_delay_alu instid0(VALU_DEP_4) | instskip(SKIP_1) | instid1(VALU_DEP_3)
	v_fma_f64 v[100:101], v[74:75], s[22:23], v[112:113]
	v_mul_f64_e32 v[150:151], s[14:15], v[106:107]
	v_add_f64_e32 v[96:97], v[96:97], v[126:127]
	v_mul_f64_e32 v[126:127], s[24:25], v[108:109]
	s_delay_alu instid0(VALU_DEP_2) | instskip(SKIP_1) | instid1(VALU_DEP_1)
	v_add_f64_e32 v[96:97], v[100:101], v[96:97]
	v_fma_f64 v[100:101], v[44:45], s[20:21], v[124:125]
	v_add_f64_e32 v[98:99], v[100:101], v[98:99]
	s_delay_alu instid0(VALU_DEP_4) | instskip(NEXT) | instid1(VALU_DEP_1)
	v_fma_f64 v[100:101], v[70:71], s[2:3], v[126:127]
	v_add_f64_e32 v[96:97], v[100:101], v[96:97]
	v_fma_f64 v[100:101], v[60:61], s[30:31], v[148:149]
	s_delay_alu instid0(VALU_DEP_1) | instskip(SKIP_1) | instid1(VALU_DEP_1)
	v_add_f64_e32 v[98:99], v[100:101], v[98:99]
	v_fma_f64 v[100:101], v[72:73], s[12:13], v[150:151]
	v_add_f64_e32 v[96:97], v[100:101], v[96:97]
	v_fma_f64 v[100:101], v[68:69], s[36:37], v[152:153]
	s_delay_alu instid0(VALU_DEP_1) | instskip(SKIP_1) | instid1(VALU_DEP_1)
	v_add_f64_e32 v[98:99], v[100:101], v[98:99]
	v_fma_f64 v[100:101], v[80:81], s[16:17], v[154:155]
	v_add_f64_e32 v[100:101], v[100:101], v[128:129]
	v_mul_f64_e32 v[128:129], s[16:17], v[144:145]
	s_delay_alu instid0(VALU_DEP_1) | instskip(NEXT) | instid1(VALU_DEP_1)
	v_fma_f64 v[102:103], v[78:79], s[18:19], v[128:129]
	v_add_f64_e32 v[102:103], v[102:103], v[114:115]
	v_mul_f64_e32 v[114:115], s[24:25], v[132:133]
	v_mul_f64_e32 v[132:133], s[14:15], v[132:133]
	s_delay_alu instid0(VALU_DEP_2) | instskip(NEXT) | instid1(VALU_DEP_1)
	v_fma_f64 v[156:157], v[74:75], s[2:3], v[114:115]
	v_add_f64_e32 v[100:101], v[156:157], v[100:101]
	v_mul_f64_e32 v[156:157], s[2:3], v[118:119]
	v_mul_f64_e32 v[118:119], s[12:13], v[118:119]
	s_delay_alu instid0(VALU_DEP_2) | instskip(NEXT) | instid1(VALU_DEP_1)
	;; [unrolled: 5-line block ×3, first 2 shown]
	v_fma_f64 v[160:161], v[70:71], s[8:9], v[158:159]
	v_add_f64_e32 v[100:101], v[160:161], v[100:101]
	v_mul_f64_e32 v[160:161], s[8:9], v[169:170]
	s_delay_alu instid0(VALU_DEP_1) | instskip(NEXT) | instid1(VALU_DEP_1)
	v_fma_f64 v[162:163], v[60:61], s[28:29], v[160:161]
	v_add_f64_e32 v[102:103], v[162:163], v[102:103]
	v_mul_f64_e32 v[162:163], s[26:27], v[106:107]
	s_delay_alu instid0(VALU_DEP_1) | instskip(NEXT) | instid1(VALU_DEP_1)
	;; [unrolled: 4-line block ×3, first 2 shown]
	v_fma_f64 v[90:91], v[68:69], s[20:21], v[88:89]
	v_add_f64_e32 v[102:103], v[90:91], v[102:103]
	v_mul_f64_e32 v[90:91], s[30:31], v[138:139]
	s_delay_alu instid0(VALU_DEP_1) | instskip(SKIP_1) | instid1(VALU_DEP_2)
	v_fma_f64 v[138:139], v[80:81], s[2:3], v[90:91]
	v_fma_f64 v[90:91], v[80:81], s[2:3], -v[90:91]
	v_add_f64_e32 v[130:131], v[138:139], v[130:131]
	v_mul_f64_e32 v[138:139], s[2:3], v[144:145]
	s_delay_alu instid0(VALU_DEP_1) | instskip(NEXT) | instid1(VALU_DEP_1)
	v_fma_f64 v[144:145], v[78:79], s[24:25], v[138:139]
	v_add_f64_e32 v[116:117], v[144:145], v[116:117]
	v_fma_f64 v[144:145], v[74:75], s[12:13], v[132:133]
	s_delay_alu instid0(VALU_DEP_1) | instskip(SKIP_1) | instid1(VALU_DEP_1)
	v_add_f64_e32 v[130:131], v[144:145], v[130:131]
	v_fma_f64 v[144:145], v[44:45], s[36:37], v[118:119]
	v_add_f64_e32 v[116:117], v[144:145], v[116:117]
	v_fma_f64 v[144:145], v[70:71], s[22:23], v[108:109]
	s_delay_alu instid0(VALU_DEP_1) | instskip(SKIP_1) | instid1(VALU_DEP_1)
	v_add_f64_e32 v[130:131], v[144:145], v[130:131]
	v_mul_f64_e32 v[144:145], s[22:23], v[169:170]
	v_fma_f64 v[169:170], v[60:61], s[20:21], v[144:145]
	s_delay_alu instid0(VALU_DEP_1) | instskip(SKIP_2) | instid1(VALU_DEP_2)
	v_add_f64_e32 v[116:117], v[169:170], v[116:117]
	v_mul_f64_e32 v[169:170], s[18:19], v[106:107]
	v_fma_f64 v[106:107], v[68:69], s[34:35], v[172:173]
	v_fma_f64 v[104:105], v[72:73], s[16:17], v[169:170]
	s_delay_alu instid0(VALU_DEP_2)
	v_add_f64_e32 v[106:107], v[106:107], v[116:117]
	v_add_f64_e32 v[116:117], v[134:135], v[32:33]
	v_fma_f64 v[32:33], v[80:81], s[8:9], -v[110:111]
	v_fma_f64 v[110:111], v[78:79], s[34:35], v[128:129]
	v_add_f64_e32 v[104:105], v[104:105], v[130:131]
	v_add_f64_e32 v[130:131], v[136:137], v[34:35]
	v_fma_f64 v[34:35], v[80:81], s[16:17], -v[154:155]
	v_fma_f64 v[80:81], v[80:81], s[22:23], -v[86:87]
	v_fma_f64 v[86:87], v[78:79], s[28:29], v[122:123]
	v_fma_f64 v[122:123], v[78:79], s[30:31], v[138:139]
	v_fma_f64 v[78:79], v[78:79], s[20:21], v[84:85]
	v_fma_f64 v[84:85], v[74:75], s[22:23], -v[112:113]
	v_fma_f64 v[112:113], v[74:75], s[2:3], -v[114:115]
	;; [unrolled: 1-line block ×4, first 2 shown]
	v_add_f64_e32 v[32:33], v[32:33], v[56:57]
	v_fma_f64 v[82:83], v[70:71], s[22:23], -v[108:109]
	v_add_f64_e32 v[28:29], v[116:117], v[28:29]
	v_add_f64_e32 v[30:31], v[130:131], v[30:31]
	;; [unrolled: 1-line block ×6, first 2 shown]
	v_fma_f64 v[80:81], v[44:45], s[14:15], v[118:119]
	v_add_f64_e32 v[56:57], v[86:87], v[58:59]
	v_add_f64_e32 v[58:59], v[110:111], v[64:65]
	v_fma_f64 v[64:65], v[44:45], s[26:27], v[124:125]
	v_fma_f64 v[66:67], v[44:45], s[24:25], v[156:157]
	;; [unrolled: 1-line block ×3, first 2 shown]
	v_add_f64_e32 v[52:53], v[78:79], v[52:53]
	v_fma_f64 v[76:77], v[70:71], s[2:3], -v[126:127]
	v_fma_f64 v[78:79], v[70:71], s[8:9], -v[158:159]
	v_fma_f64 v[70:71], v[60:61], s[26:27], v[144:145]
	v_add_f64_e32 v[32:33], v[84:85], v[32:33]
	v_add_f64_e32 v[34:35], v[112:113], v[34:35]
	;; [unrolled: 1-line block ×4, first 2 shown]
	v_fma_f64 v[74:75], v[72:73], s[16:17], -v[169:170]
	v_add_f64_e32 v[46:47], v[80:81], v[46:47]
	v_add_f64_e32 v[56:57], v[64:65], v[56:57]
	;; [unrolled: 1-line block ×3, first 2 shown]
	v_fma_f64 v[64:65], v[60:61], s[24:25], v[148:149]
	v_fma_f64 v[66:67], v[60:61], s[0:1], v[160:161]
	v_add_f64_e32 v[44:45], v[44:45], v[52:53]
	v_fma_f64 v[60:61], v[72:73], s[22:23], -v[162:163]
	v_fma_f64 v[52:53], v[72:73], s[12:13], -v[150:151]
	v_add_f64_e32 v[32:33], v[76:77], v[32:33]
	v_fma_f64 v[72:73], v[72:73], s[8:9], -v[120:121]
	v_add_f64_e32 v[34:35], v[78:79], v[34:35]
	v_add_f64_e32 v[62:63], v[82:83], v[62:63]
	;; [unrolled: 1-line block ×3, first 2 shown]
	v_fma_f64 v[50:51], v[68:69], s[18:19], v[172:173]
	v_add_f64_e32 v[46:47], v[70:71], v[46:47]
	v_add_f64_e32 v[56:57], v[64:65], v[56:57]
	;; [unrolled: 1-line block ×3, first 2 shown]
	v_fma_f64 v[64:65], v[68:69], s[26:27], v[88:89]
	v_fma_f64 v[66:67], v[68:69], s[14:15], v[152:153]
	;; [unrolled: 1-line block ×3, first 2 shown]
	v_add_f64_e32 v[70:71], v[48:49], v[44:45]
	v_add_f64_e32 v[32:33], v[52:53], v[32:33]
	;; [unrolled: 1-line block ×9, first 2 shown]
	ds_store_b128 v171, v[92:95] offset:32
	ds_store_b128 v171, v[96:99] offset:48
	;; [unrolled: 1-line block ×9, first 2 shown]
	ds_store_b128 v171, v[28:31]
	ds_store_b128 v171, v[52:55] offset:160
	s_and_saveexec_b32 s33, vcc_lo
	s_cbranch_execz .LBB0_13
; %bb.12:
	s_clause 0x2
	scratch_load_b128 v[110:113], off, off offset:8 th:TH_LOAD_LU
	scratch_load_b128 v[114:117], off, off offset:24 th:TH_LOAD_LU
	;; [unrolled: 1-line block ×3, first 2 shown]
	v_add_f64_e32 v[28:29], v[6:7], v[14:15]
	v_add_f64_e32 v[30:31], v[4:5], v[12:13]
	v_add_f64_e64 v[34:35], v[20:21], -v[24:25]
	v_add_f64_e64 v[38:39], v[22:23], -v[26:27]
	v_add_f64_e32 v[44:45], v[22:23], v[26:27]
	v_add_f64_e32 v[28:29], v[28:29], v[2:3]
	;; [unrolled: 1-line block ×3, first 2 shown]
	v_mul_f64_e32 v[106:107], s[14:15], v[34:35]
	v_mul_f64_e32 v[108:109], s[14:15], v[38:39]
	s_delay_alu instid0(VALU_DEP_4) | instskip(NEXT) | instid1(VALU_DEP_4)
	v_add_f64_e32 v[28:29], v[28:29], v[10:11]
	v_add_f64_e32 v[30:31], v[30:31], v[8:9]
	s_delay_alu instid0(VALU_DEP_2) | instskip(NEXT) | instid1(VALU_DEP_2)
	v_add_f64_e32 v[28:29], v[28:29], v[18:19]
	v_add_f64_e32 v[30:31], v[30:31], v[16:17]
	s_delay_alu instid0(VALU_DEP_2) | instskip(NEXT) | instid1(VALU_DEP_2)
	;; [unrolled: 3-line block ×3, first 2 shown]
	v_add_f64_e32 v[22:23], v[28:29], v[26:27]
	v_add_f64_e32 v[26:27], v[30:31], v[24:25]
	;; [unrolled: 1-line block ×3, first 2 shown]
	s_wait_loadcnt 0x2
	v_add_f64_e64 v[32:33], v[12:13], -v[110:111]
	v_add_f64_e32 v[40:41], v[14:15], v[112:113]
	s_wait_loadcnt 0x0
	v_add_f64_e64 v[30:31], v[18:19], -v[52:53]
	v_add_f64_e32 v[48:49], v[18:19], v[52:53]
	v_add_f64_e64 v[14:15], v[14:15], -v[112:113]
	v_add_f64_e64 v[36:37], v[16:17], -v[50:51]
	v_add_f64_e32 v[12:13], v[12:13], v[110:111]
	v_add_f64_e32 v[22:23], v[22:23], v[52:53]
	;; [unrolled: 1-line block ×3, first 2 shown]
	v_add_f64_e64 v[86:87], v[0:1], -v[114:115]
	v_add_f64_e32 v[90:91], v[2:3], v[116:117]
	v_add_f64_e64 v[88:89], v[2:3], -v[116:117]
	v_add_f64_e32 v[92:93], v[0:1], v[114:115]
	v_mul_f64_e32 v[42:43], s[0:1], v[32:33]
	v_mul_f64_e32 v[28:29], s[14:15], v[32:33]
	;; [unrolled: 1-line block ×5, first 2 shown]
	v_add_f64_e32 v[32:33], v[16:17], v[50:51]
	v_mul_f64_e32 v[58:59], s[14:15], v[14:15]
	v_mul_f64_e32 v[60:61], s[18:19], v[14:15]
	;; [unrolled: 1-line block ×5, first 2 shown]
	v_fma_f64 v[16:17], v[40:41], s[8:9], v[42:43]
	v_fma_f64 v[42:43], v[40:41], s[8:9], -v[42:43]
	v_fma_f64 v[50:51], v[40:41], s[12:13], v[28:29]
	v_fma_f64 v[28:29], v[40:41], s[12:13], -v[28:29]
	;; [unrolled: 2-line block ×3, first 2 shown]
	v_fma_f64 v[54:55], v[40:41], s[22:23], -v[46:47]
	v_fma_f64 v[46:47], v[40:41], s[22:23], v[46:47]
	v_fma_f64 v[56:57], v[40:41], s[2:3], v[18:19]
	v_fma_f64 v[18:19], v[40:41], s[2:3], -v[18:19]
	v_mul_f64_e32 v[40:41], s[0:1], v[14:15]
	v_mul_f64_e32 v[14:15], s[24:25], v[14:15]
	v_fma_f64 v[66:67], v[12:13], s[12:13], -v[58:59]
	v_fma_f64 v[58:59], v[12:13], s[12:13], v[58:59]
	v_fma_f64 v[68:69], v[12:13], s[16:17], v[60:61]
	v_fma_f64 v[60:61], v[12:13], s[16:17], -v[60:61]
	v_fma_f64 v[70:71], v[12:13], s[22:23], v[62:63]
	v_fma_f64 v[62:63], v[12:13], s[22:23], -v[62:63]
	v_add_f64_e32 v[42:43], v[6:7], v[42:43]
	v_add_f64_e32 v[50:51], v[6:7], v[50:51]
	;; [unrolled: 1-line block ×8, first 2 shown]
	v_fma_f64 v[64:65], v[12:13], s[8:9], -v[40:41]
	v_fma_f64 v[40:41], v[12:13], s[8:9], v[40:41]
	v_fma_f64 v[72:73], v[12:13], s[2:3], v[14:15]
	v_fma_f64 v[12:13], v[12:13], s[2:3], -v[14:15]
	v_add_f64_e32 v[14:15], v[6:7], v[16:17]
	v_add_f64_e32 v[58:59], v[4:5], v[58:59]
	;; [unrolled: 1-line block ×12, first 2 shown]
	scratch_load_b128 v[4:7], off, off offset:40 th:TH_LOAD_LU ; 16-byte Folded Reload
	v_mul_f64_e32 v[18:19], s[18:19], v[34:35]
	s_wait_loadcnt 0x0
	v_add_f64_e64 v[76:77], v[8:9], -v[4:5]
	v_add_f64_e32 v[82:83], v[8:9], v[4:5]
	v_add_f64_e32 v[26:27], v[26:27], v[4:5]
	v_mul_f64_e32 v[4:5], s[30:31], v[86:87]
	v_add_f64_e32 v[80:81], v[10:11], v[6:7]
	v_add_f64_e64 v[78:79], v[10:11], -v[6:7]
	v_add_f64_e32 v[84:85], v[22:23], v[6:7]
	v_mul_f64_e32 v[6:7], s[30:31], v[88:89]
	v_mul_f64_e32 v[22:23], s[18:19], v[38:39]
	;; [unrolled: 1-line block ×3, first 2 shown]
	v_fma_f64 v[0:1], v[90:91], s[2:3], v[4:5]
	v_fma_f64 v[4:5], v[90:91], s[2:3], -v[4:5]
	v_add_f64_e32 v[84:85], v[84:85], v[116:117]
	v_fma_f64 v[2:3], v[92:93], s[2:3], -v[6:7]
	v_fma_f64 v[6:7], v[92:93], s[2:3], v[6:7]
	v_fma_f64 v[10:11], v[80:81], s[12:13], v[8:9]
	v_fma_f64 v[8:9], v[80:81], s[12:13], -v[8:9]
	v_add_f64_e32 v[0:1], v[0:1], v[14:15]
	v_add_f64_e32 v[4:5], v[4:5], v[42:43]
	;; [unrolled: 1-line block ×4, first 2 shown]
	s_delay_alu instid0(VALU_DEP_4) | instskip(SKIP_2) | instid1(VALU_DEP_2)
	v_add_f64_e32 v[0:1], v[10:11], v[0:1]
	v_mul_f64_e32 v[10:11], s[14:15], v[78:79]
	v_add_f64_e32 v[4:5], v[8:9], v[4:5]
	v_fma_f64 v[12:13], v[82:83], s[12:13], -v[10:11]
	v_fma_f64 v[8:9], v[82:83], s[12:13], v[10:11]
	v_fma_f64 v[10:11], v[24:25], s[16:17], v[22:23]
	s_delay_alu instid0(VALU_DEP_3) | instskip(SKIP_1) | instid1(VALU_DEP_4)
	v_add_f64_e32 v[2:3], v[12:13], v[2:3]
	v_mul_f64_e32 v[12:13], s[26:27], v[36:37]
	v_add_f64_e32 v[6:7], v[8:9], v[6:7]
	s_delay_alu instid0(VALU_DEP_2) | instskip(SKIP_2) | instid1(VALU_DEP_3)
	v_fma_f64 v[14:15], v[48:49], s[22:23], v[12:13]
	v_fma_f64 v[8:9], v[48:49], s[22:23], -v[12:13]
	v_mul_f64_e32 v[12:13], s[34:35], v[86:87]
	v_add_f64_e32 v[0:1], v[14:15], v[0:1]
	v_mul_f64_e32 v[14:15], s[26:27], v[30:31]
	s_delay_alu instid0(VALU_DEP_4) | instskip(NEXT) | instid1(VALU_DEP_2)
	v_add_f64_e32 v[4:5], v[8:9], v[4:5]
	v_fma_f64 v[16:17], v[32:33], s[22:23], -v[14:15]
	v_fma_f64 v[8:9], v[32:33], s[22:23], v[14:15]
	v_mul_f64_e32 v[14:15], s[34:35], v[88:89]
	s_delay_alu instid0(VALU_DEP_3) | instskip(SKIP_1) | instid1(VALU_DEP_4)
	v_add_f64_e32 v[16:17], v[16:17], v[2:3]
	v_fma_f64 v[2:3], v[44:45], s[16:17], v[18:19]
	v_add_f64_e32 v[8:9], v[8:9], v[6:7]
	v_fma_f64 v[6:7], v[44:45], s[16:17], -v[18:19]
	s_delay_alu instid0(VALU_DEP_3) | instskip(SKIP_1) | instid1(VALU_DEP_3)
	v_add_f64_e32 v[2:3], v[2:3], v[0:1]
	v_fma_f64 v[0:1], v[24:25], s[16:17], -v[22:23]
	v_add_f64_e32 v[6:7], v[6:7], v[4:5]
	v_add_f64_e32 v[4:5], v[10:11], v[8:9]
	v_fma_f64 v[8:9], v[90:91], s[16:17], v[12:13]
	v_fma_f64 v[10:11], v[92:93], s[16:17], -v[14:15]
	v_fma_f64 v[12:13], v[90:91], s[16:17], -v[12:13]
	v_fma_f64 v[14:15], v[92:93], s[16:17], v[14:15]
	v_add_f64_e32 v[0:1], v[0:1], v[16:17]
	v_mul_f64_e32 v[16:17], s[24:25], v[76:77]
	v_add_f64_e32 v[8:9], v[8:9], v[50:51]
	v_add_f64_e32 v[10:11], v[10:11], v[64:65]
	;; [unrolled: 1-line block ×4, first 2 shown]
	v_mul_f64_e32 v[50:51], s[26:27], v[34:35]
	v_mul_f64_e32 v[64:65], s[26:27], v[38:39]
	;; [unrolled: 1-line block ×4, first 2 shown]
	v_fma_f64 v[18:19], v[80:81], s[2:3], v[16:17]
	v_fma_f64 v[16:17], v[80:81], s[2:3], -v[16:17]
	s_delay_alu instid0(VALU_DEP_2) | instskip(SKIP_1) | instid1(VALU_DEP_3)
	v_add_f64_e32 v[8:9], v[18:19], v[8:9]
	v_mul_f64_e32 v[18:19], s[24:25], v[78:79]
	v_add_f64_e32 v[12:13], v[16:17], v[12:13]
	s_delay_alu instid0(VALU_DEP_2) | instskip(SKIP_2) | instid1(VALU_DEP_3)
	v_fma_f64 v[22:23], v[82:83], s[2:3], -v[18:19]
	v_fma_f64 v[16:17], v[82:83], s[2:3], v[18:19]
	v_fma_f64 v[18:19], v[24:25], s[22:23], v[64:65]
	v_add_f64_e32 v[10:11], v[22:23], v[10:11]
	v_mul_f64_e32 v[22:23], s[0:1], v[36:37]
	s_delay_alu instid0(VALU_DEP_4) | instskip(NEXT) | instid1(VALU_DEP_2)
	v_add_f64_e32 v[14:15], v[16:17], v[14:15]
	v_fma_f64 v[40:41], v[48:49], s[8:9], v[22:23]
	v_fma_f64 v[16:17], v[48:49], s[8:9], -v[22:23]
	s_delay_alu instid0(VALU_DEP_2) | instskip(SKIP_1) | instid1(VALU_DEP_3)
	v_add_f64_e32 v[8:9], v[40:41], v[8:9]
	v_mul_f64_e32 v[40:41], s[0:1], v[30:31]
	v_add_f64_e32 v[12:13], v[16:17], v[12:13]
	s_delay_alu instid0(VALU_DEP_2) | instskip(SKIP_3) | instid1(VALU_DEP_4)
	v_fma_f64 v[42:43], v[32:33], s[8:9], -v[40:41]
	v_fma_f64 v[16:17], v[32:33], s[8:9], v[40:41]
	v_mul_f64_e32 v[40:41], s[14:15], v[88:89]
	v_mul_f64_e32 v[88:89], s[20:21], v[88:89]
	v_add_f64_e32 v[42:43], v[42:43], v[10:11]
	v_fma_f64 v[10:11], v[44:45], s[22:23], v[50:51]
	v_add_f64_e32 v[16:17], v[16:17], v[14:15]
	v_fma_f64 v[14:15], v[44:45], s[22:23], -v[50:51]
	v_mul_f64_e32 v[50:51], s[28:29], v[78:79]
	s_delay_alu instid0(VALU_DEP_4) | instskip(SKIP_1) | instid1(VALU_DEP_4)
	v_add_f64_e32 v[10:11], v[10:11], v[8:9]
	v_fma_f64 v[8:9], v[24:25], s[22:23], -v[64:65]
	v_add_f64_e32 v[14:15], v[14:15], v[12:13]
	v_add_f64_e32 v[12:13], v[18:19], v[16:17]
	v_fma_f64 v[16:17], v[90:91], s[12:13], -v[28:29]
	v_fma_f64 v[18:19], v[92:93], s[12:13], v[40:41]
	v_mul_f64_e32 v[64:65], s[30:31], v[34:35]
	v_fma_f64 v[28:29], v[90:91], s[12:13], v[28:29]
	v_fma_f64 v[40:41], v[92:93], s[12:13], -v[40:41]
	v_mul_f64_e32 v[34:35], s[0:1], v[34:35]
	v_add_f64_e32 v[8:9], v[8:9], v[42:43]
	v_mul_f64_e32 v[42:43], s[28:29], v[76:77]
	v_add_f64_e32 v[16:17], v[16:17], v[54:55]
	v_add_f64_e32 v[18:19], v[18:19], v[66:67]
	v_mul_f64_e32 v[54:55], s[34:35], v[36:37]
	v_mul_f64_e32 v[66:67], s[30:31], v[38:39]
	v_add_f64_e32 v[28:29], v[28:29], v[46:47]
	v_add_f64_e32 v[40:41], v[40:41], v[62:63]
	v_fma_f64 v[22:23], v[80:81], s[8:9], -v[42:43]
	v_fma_f64 v[42:43], v[80:81], s[8:9], v[42:43]
	s_delay_alu instid0(VALU_DEP_2) | instskip(SKIP_2) | instid1(VALU_DEP_4)
	v_add_f64_e32 v[16:17], v[22:23], v[16:17]
	v_fma_f64 v[22:23], v[82:83], s[8:9], v[50:51]
	v_fma_f64 v[50:51], v[82:83], s[8:9], -v[50:51]
	v_add_f64_e32 v[28:29], v[42:43], v[28:29]
	s_delay_alu instid0(VALU_DEP_3) | instskip(SKIP_4) | instid1(VALU_DEP_4)
	v_add_f64_e32 v[18:19], v[22:23], v[18:19]
	v_fma_f64 v[22:23], v[48:49], s[16:17], -v[54:55]
	v_fma_f64 v[54:55], v[48:49], s[16:17], v[54:55]
	v_add_f64_e32 v[40:41], v[50:51], v[40:41]
	v_fma_f64 v[50:51], v[44:45], s[12:13], v[106:107]
	v_add_f64_e32 v[16:17], v[22:23], v[16:17]
	v_fma_f64 v[22:23], v[32:33], s[16:17], v[58:59]
	v_fma_f64 v[58:59], v[32:33], s[16:17], -v[58:59]
	v_add_f64_e32 v[28:29], v[54:55], v[28:29]
	s_delay_alu instid0(VALU_DEP_3) | instskip(SKIP_1) | instid1(VALU_DEP_4)
	v_add_f64_e32 v[22:23], v[22:23], v[18:19]
	v_fma_f64 v[18:19], v[44:45], s[2:3], -v[64:65]
	v_add_f64_e32 v[40:41], v[58:59], v[40:41]
	s_delay_alu instid0(VALU_DEP_2) | instskip(SKIP_1) | instid1(VALU_DEP_1)
	v_add_f64_e32 v[18:19], v[18:19], v[16:17]
	v_fma_f64 v[16:17], v[24:25], s[2:3], v[66:67]
	v_add_f64_e32 v[16:17], v[16:17], v[22:23]
	v_fma_f64 v[22:23], v[90:91], s[8:9], -v[94:95]
	s_delay_alu instid0(VALU_DEP_1) | instskip(SKIP_1) | instid1(VALU_DEP_1)
	v_add_f64_e32 v[20:21], v[22:23], v[20:21]
	v_fma_f64 v[22:23], v[92:93], s[8:9], v[96:97]
	v_add_f64_e32 v[22:23], v[22:23], v[68:69]
	v_mul_f64_e32 v[68:69], s[26:27], v[76:77]
	v_mul_f64_e32 v[76:77], s[18:19], v[76:77]
	s_delay_alu instid0(VALU_DEP_2) | instskip(SKIP_1) | instid1(VALU_DEP_2)
	v_fma_f64 v[98:99], v[80:81], s[22:23], -v[68:69]
	v_fma_f64 v[68:69], v[80:81], s[22:23], v[68:69]
	v_add_f64_e32 v[20:21], v[98:99], v[20:21]
	v_mul_f64_e32 v[98:99], s[26:27], v[78:79]
	v_mul_f64_e32 v[78:79], s[18:19], v[78:79]
	s_delay_alu instid0(VALU_DEP_2) | instskip(NEXT) | instid1(VALU_DEP_1)
	v_fma_f64 v[100:101], v[82:83], s[22:23], v[98:99]
	v_add_f64_e32 v[22:23], v[100:101], v[22:23]
	v_mul_f64_e32 v[100:101], s[24:25], v[36:37]
	v_mul_f64_e32 v[36:37], s[14:15], v[36:37]
	s_delay_alu instid0(VALU_DEP_2) | instskip(NEXT) | instid1(VALU_DEP_1)
	v_fma_f64 v[102:103], v[48:49], s[2:3], -v[100:101]
	v_add_f64_e32 v[20:21], v[102:103], v[20:21]
	v_mul_f64_e32 v[102:103], s[24:25], v[30:31]
	v_mul_f64_e32 v[30:31], s[14:15], v[30:31]
	s_delay_alu instid0(VALU_DEP_2) | instskip(NEXT) | instid1(VALU_DEP_2)
	v_fma_f64 v[104:105], v[32:33], s[2:3], v[102:103]
	v_fma_f64 v[62:63], v[32:33], s[12:13], -v[30:31]
	v_fma_f64 v[30:31], v[32:33], s[12:13], v[30:31]
	s_delay_alu instid0(VALU_DEP_3) | instskip(SKIP_1) | instid1(VALU_DEP_1)
	v_add_f64_e32 v[104:105], v[104:105], v[22:23]
	v_fma_f64 v[22:23], v[44:45], s[12:13], -v[106:107]
	v_add_f64_e32 v[22:23], v[22:23], v[20:21]
	v_fma_f64 v[20:21], v[24:25], s[12:13], v[108:109]
	s_delay_alu instid0(VALU_DEP_1) | instskip(SKIP_3) | instid1(VALU_DEP_2)
	v_add_f64_e32 v[20:21], v[20:21], v[104:105]
	v_add_f64_e32 v[104:105], v[26:27], v[114:115]
	v_mul_f64_e32 v[26:27], s[20:21], v[86:87]
	v_fma_f64 v[86:87], v[90:91], s[8:9], v[94:95]
	v_fma_f64 v[94:95], v[90:91], s[22:23], v[26:27]
	v_fma_f64 v[26:27], v[90:91], s[22:23], -v[26:27]
	v_fma_f64 v[90:91], v[92:93], s[8:9], -v[96:97]
	;; [unrolled: 1-line block ×3, first 2 shown]
	v_fma_f64 v[88:89], v[92:93], s[22:23], v[88:89]
	v_fma_f64 v[92:93], v[80:81], s[16:17], v[76:77]
	v_fma_f64 v[76:77], v[80:81], s[16:17], -v[76:77]
	v_fma_f64 v[80:81], v[82:83], s[22:23], -v[98:99]
	;; [unrolled: 1-line block ×3, first 2 shown]
	v_fma_f64 v[78:79], v[82:83], s[16:17], v[78:79]
	v_fma_f64 v[82:83], v[48:49], s[2:3], v[100:101]
	;; [unrolled: 1-line block ×3, first 2 shown]
	v_fma_f64 v[36:37], v[48:49], s[12:13], -v[36:37]
	v_add_f64_e32 v[48:49], v[86:87], v[52:53]
	v_add_f64_e32 v[46:47], v[94:95], v[56:57]
	;; [unrolled: 1-line block ×4, first 2 shown]
	v_fma_f64 v[60:61], v[32:33], s[2:3], -v[102:103]
	v_add_f64_e32 v[56:57], v[88:89], v[72:73]
	v_add_f64_e32 v[32:33], v[96:97], v[74:75]
	;; [unrolled: 1-line block ×7, first 2 shown]
	v_fma_f64 v[56:57], v[44:45], s[2:3], v[64:65]
	v_fma_f64 v[64:65], v[44:45], s[8:9], v[34:35]
	v_fma_f64 v[44:45], v[44:45], s[8:9], -v[34:35]
	v_add_f64_e32 v[32:33], v[98:99], v[32:33]
	v_add_f64_e32 v[34:35], v[82:83], v[48:49]
	;; [unrolled: 1-line block ×5, first 2 shown]
	v_mul_f64_e32 v[26:27], s[0:1], v[38:39]
	v_add_f64_e32 v[46:47], v[30:31], v[46:47]
	v_fma_f64 v[30:31], v[24:25], s[12:13], -v[108:109]
	v_fma_f64 v[38:39], v[24:25], s[2:3], -v[66:67]
	v_add_f64_e32 v[32:33], v[62:63], v[32:33]
	v_fma_f64 v[52:53], v[24:25], s[8:9], v[26:27]
	v_fma_f64 v[54:55], v[24:25], s[8:9], -v[26:27]
	v_add_f64_e32 v[24:25], v[30:31], v[48:49]
	v_add_f64_e32 v[30:31], v[56:57], v[28:29]
	;; [unrolled: 1-line block ×4, first 2 shown]
	scratch_load_b32 v44, off, off offset:748 th:TH_LOAD_LU ; 4-byte Folded Reload
	v_add_f64_e32 v[26:27], v[50:51], v[34:35]
	v_add_f64_e32 v[34:35], v[64:65], v[42:43]
	;; [unrolled: 1-line block ×6, first 2 shown]
	s_wait_loadcnt 0x0
	v_lshlrev_b32_e32 v44, 4, v44
	ds_store_b128 v44, v[16:19] offset:32
	ds_store_b128 v44, v[20:23] offset:48
	;; [unrolled: 1-line block ×9, first 2 shown]
	ds_store_b128 v44, v[40:43]
	ds_store_b128 v44, v[32:35] offset:160
.LBB0_13:
	s_wait_alu 0xfffe
	s_or_b32 exec_lo, exec_lo, s33
	global_wb scope:SCOPE_SE
	s_wait_dscnt 0x0
	s_barrier_signal -1
	s_barrier_wait -1
	global_inv scope:SCOPE_SE
	ds_load_b128 v[0:3], v168 offset:9504
	ds_load_b128 v[4:7], v168 offset:11088
	scratch_load_b128 v[14:17], off, off offset:604 th:TH_LOAD_LU ; 16-byte Folded Reload
	s_mov_b32 s0, 0xe8584caa
	s_mov_b32 s1, 0xbfebb67a
	;; [unrolled: 1-line block ×3, first 2 shown]
	s_wait_alu 0xfffe
	s_mov_b32 s2, s0
	s_wait_loadcnt_dscnt 0x1
	v_mul_f64_e32 v[8:9], v[16:17], v[2:3]
	s_delay_alu instid0(VALU_DEP_1) | instskip(SKIP_1) | instid1(VALU_DEP_1)
	v_fma_f64 v[12:13], v[14:15], v[0:1], v[8:9]
	v_mul_f64_e32 v[0:1], v[16:17], v[0:1]
	v_fma_f64 v[14:15], v[14:15], v[2:3], -v[0:1]
	ds_load_b128 v[0:3], v168 offset:19008
	ds_load_b128 v[8:11], v168 offset:20592
	scratch_load_b128 v[18:21], off, off offset:588 th:TH_LOAD_LU ; 16-byte Folded Reload
	s_wait_loadcnt_dscnt 0x1
	v_mul_f64_e32 v[16:17], v[20:21], v[2:3]
	s_delay_alu instid0(VALU_DEP_1)
	v_fma_f64 v[16:17], v[18:19], v[0:1], v[16:17]
	v_mul_f64_e32 v[0:1], v[20:21], v[0:1]
	scratch_load_b128 v[20:23], off, off offset:660 th:TH_LOAD_LU ; 16-byte Folded Reload
	v_fma_f64 v[18:19], v[18:19], v[2:3], -v[0:1]
	s_wait_loadcnt 0x0
	v_mul_f64_e32 v[0:1], v[22:23], v[6:7]
	s_delay_alu instid0(VALU_DEP_1)
	v_fma_f64 v[32:33], v[20:21], v[4:5], v[0:1]
	v_mul_f64_e32 v[0:1], v[22:23], v[4:5]
	scratch_load_b128 v[2:5], off, off offset:644 th:TH_LOAD_LU ; 16-byte Folded Reload
	v_fma_f64 v[34:35], v[20:21], v[6:7], -v[0:1]
	s_wait_loadcnt_dscnt 0x0
	v_mul_f64_e32 v[0:1], v[4:5], v[10:11]
	s_delay_alu instid0(VALU_DEP_1) | instskip(SKIP_1) | instid1(VALU_DEP_1)
	v_fma_f64 v[36:37], v[2:3], v[8:9], v[0:1]
	v_mul_f64_e32 v[0:1], v[4:5], v[8:9]
	v_fma_f64 v[38:39], v[2:3], v[10:11], -v[0:1]
	ds_load_b128 v[0:3], v168 offset:12672
	ds_load_b128 v[4:7], v168 offset:14256
	scratch_load_b128 v[20:23], off, off offset:272 th:TH_LOAD_LU ; 16-byte Folded Reload
	s_wait_loadcnt_dscnt 0x1
	v_mul_f64_e32 v[8:9], v[22:23], v[2:3]
	s_delay_alu instid0(VALU_DEP_1) | instskip(SKIP_1) | instid1(VALU_DEP_1)
	v_fma_f64 v[40:41], v[20:21], v[0:1], v[8:9]
	v_mul_f64_e32 v[0:1], v[22:23], v[0:1]
	v_fma_f64 v[42:43], v[20:21], v[2:3], -v[0:1]
	ds_load_b128 v[0:3], v168 offset:22176
	ds_load_b128 v[8:11], v168 offset:23760
	scratch_load_b128 v[22:25], off, off offset:256 th:TH_LOAD_LU ; 16-byte Folded Reload
	s_wait_loadcnt_dscnt 0x1
	v_mul_f64_e32 v[20:21], v[24:25], v[2:3]
	s_delay_alu instid0(VALU_DEP_1) | instskip(SKIP_1) | instid1(VALU_DEP_1)
	v_fma_f64 v[44:45], v[22:23], v[0:1], v[20:21]
	v_mul_f64_e32 v[0:1], v[24:25], v[0:1]
	v_fma_f64 v[46:47], v[22:23], v[2:3], -v[0:1]
	scratch_load_b128 v[20:23], off, off offset:480 th:TH_LOAD_LU ; 16-byte Folded Reload
	s_wait_loadcnt 0x0
	v_mul_f64_e32 v[0:1], v[22:23], v[6:7]
	s_delay_alu instid0(VALU_DEP_1)
	v_fma_f64 v[48:49], v[20:21], v[4:5], v[0:1]
	v_mul_f64_e32 v[0:1], v[22:23], v[4:5]
	scratch_load_b128 v[2:5], off, off offset:528 th:TH_LOAD_LU ; 16-byte Folded Reload
	v_fma_f64 v[50:51], v[20:21], v[6:7], -v[0:1]
	s_wait_loadcnt_dscnt 0x0
	v_mul_f64_e32 v[0:1], v[4:5], v[10:11]
	s_delay_alu instid0(VALU_DEP_1) | instskip(SKIP_1) | instid1(VALU_DEP_1)
	v_fma_f64 v[52:53], v[2:3], v[8:9], v[0:1]
	v_mul_f64_e32 v[0:1], v[4:5], v[8:9]
	v_fma_f64 v[54:55], v[2:3], v[10:11], -v[0:1]
	ds_load_b128 v[0:3], v168 offset:15840
	ds_load_b128 v[4:7], v168 offset:17424
	scratch_load_b128 v[20:23], off, off offset:512 th:TH_LOAD_LU ; 16-byte Folded Reload
	s_wait_loadcnt_dscnt 0x1
	v_mul_f64_e32 v[8:9], v[22:23], v[2:3]
	s_delay_alu instid0(VALU_DEP_1) | instskip(SKIP_1) | instid1(VALU_DEP_1)
	v_fma_f64 v[56:57], v[20:21], v[0:1], v[8:9]
	v_mul_f64_e32 v[0:1], v[22:23], v[0:1]
	v_fma_f64 v[58:59], v[20:21], v[2:3], -v[0:1]
	ds_load_b128 v[0:3], v168 offset:25344
	ds_load_b128 v[8:11], v168 offset:26928
	scratch_load_b128 v[22:25], off, off offset:496 th:TH_LOAD_LU ; 16-byte Folded Reload
	s_wait_loadcnt_dscnt 0x1
	v_mul_f64_e32 v[20:21], v[24:25], v[2:3]
	s_delay_alu instid0(VALU_DEP_1) | instskip(SKIP_1) | instid1(VALU_DEP_1)
	v_fma_f64 v[60:61], v[22:23], v[0:1], v[20:21]
	v_mul_f64_e32 v[0:1], v[24:25], v[0:1]
	v_fma_f64 v[62:63], v[22:23], v[2:3], -v[0:1]
	scratch_load_b128 v[20:23], off, off offset:564 th:TH_LOAD_LU ; 16-byte Folded Reload
	s_wait_loadcnt 0x0
	v_mul_f64_e32 v[0:1], v[22:23], v[6:7]
	s_delay_alu instid0(VALU_DEP_1)
	v_fma_f64 v[64:65], v[20:21], v[4:5], v[0:1]
	v_mul_f64_e32 v[0:1], v[22:23], v[4:5]
	scratch_load_b128 v[2:5], off, off offset:548 th:TH_LOAD_LU ; 16-byte Folded Reload
	v_fma_f64 v[66:67], v[20:21], v[6:7], -v[0:1]
	s_wait_loadcnt_dscnt 0x0
	v_mul_f64_e32 v[0:1], v[4:5], v[10:11]
	s_delay_alu instid0(VALU_DEP_1) | instskip(SKIP_2) | instid1(VALU_DEP_2)
	v_fma_f64 v[68:69], v[2:3], v[8:9], v[0:1]
	v_mul_f64_e32 v[0:1], v[4:5], v[8:9]
	v_add_f64_e32 v[8:9], v[12:13], v[16:17]
	v_fma_f64 v[70:71], v[2:3], v[10:11], -v[0:1]
	ds_load_b128 v[0:3], v168
	ds_load_b128 v[4:7], v168 offset:1584
	s_wait_dscnt 0x1
	v_fma_f64 v[10:11], v[8:9], -0.5, v[0:1]
	v_add_f64_e32 v[8:9], v[14:15], v[18:19]
	v_add_f64_e32 v[0:1], v[0:1], v[12:13]
	s_delay_alu instid0(VALU_DEP_2) | instskip(SKIP_2) | instid1(VALU_DEP_4)
	v_fma_f64 v[20:21], v[8:9], -0.5, v[2:3]
	v_add_f64_e32 v[2:3], v[2:3], v[14:15]
	v_add_f64_e64 v[14:15], v[14:15], -v[18:19]
	v_add_f64_e32 v[0:1], v[0:1], v[16:17]
	v_add_f64_e64 v[16:17], v[12:13], -v[16:17]
	s_delay_alu instid0(VALU_DEP_4) | instskip(NEXT) | instid1(VALU_DEP_4)
	v_add_f64_e32 v[2:3], v[2:3], v[18:19]
	v_fma_f64 v[8:9], v[14:15], s[0:1], v[10:11]
	s_wait_alu 0xfffe
	v_fma_f64 v[12:13], v[14:15], s[2:3], v[10:11]
	s_delay_alu instid0(VALU_DEP_4)
	v_fma_f64 v[10:11], v[16:17], s[2:3], v[20:21]
	v_fma_f64 v[14:15], v[16:17], s[0:1], v[20:21]
	ds_load_b128 v[16:19], v168 offset:3168
	ds_load_b128 v[20:23], v168 offset:4752
	;; [unrolled: 1-line block ×4, first 2 shown]
	global_wb scope:SCOPE_SE
	s_wait_dscnt 0x0
	s_barrier_signal -1
	s_barrier_wait -1
	global_inv scope:SCOPE_SE
	ds_store_b128 v175, v[0:3]
	ds_store_b128 v175, v[8:11] offset:176
	ds_store_b128 v175, v[12:15] offset:352
	v_add_f64_e32 v[0:1], v[32:33], v[36:37]
	v_add_f64_e64 v[12:13], v[32:33], -v[36:37]
	s_delay_alu instid0(VALU_DEP_2) | instskip(SKIP_2) | instid1(VALU_DEP_2)
	v_fma_f64 v[8:9], v[0:1], -0.5, v[4:5]
	v_add_f64_e32 v[0:1], v[34:35], v[38:39]
	v_add_f64_e32 v[4:5], v[4:5], v[32:33]
	v_fma_f64 v[10:11], v[0:1], -0.5, v[6:7]
	v_add_f64_e32 v[0:1], v[6:7], v[34:35]
	v_add_f64_e64 v[6:7], v[34:35], -v[38:39]
	s_delay_alu instid0(VALU_DEP_2) | instskip(SKIP_1) | instid1(VALU_DEP_3)
	v_add_f64_e32 v[2:3], v[0:1], v[38:39]
	v_add_f64_e32 v[0:1], v[4:5], v[36:37]
	v_fma_f64 v[4:5], v[6:7], s[0:1], v[8:9]
	v_fma_f64 v[8:9], v[6:7], s[2:3], v[8:9]
	;; [unrolled: 1-line block ×4, first 2 shown]
	ds_store_b128 v174, v[0:3]
	ds_store_b128 v174, v[4:7] offset:176
	ds_store_b128 v174, v[8:11] offset:352
	scratch_load_b32 v175, off, off offset:640 th:TH_LOAD_LU ; 4-byte Folded Reload
	v_add_f64_e32 v[0:1], v[40:41], v[44:45]
	v_add_f64_e32 v[4:5], v[16:17], v[40:41]
	v_add_f64_e64 v[8:9], v[42:43], -v[46:47]
	v_add_f64_e64 v[12:13], v[40:41], -v[44:45]
	s_delay_alu instid0(VALU_DEP_4) | instskip(SKIP_1) | instid1(VALU_DEP_1)
	v_fma_f64 v[6:7], v[0:1], -0.5, v[16:17]
	v_add_f64_e32 v[0:1], v[42:43], v[46:47]
	v_fma_f64 v[10:11], v[0:1], -0.5, v[18:19]
	v_add_f64_e32 v[0:1], v[18:19], v[42:43]
	s_delay_alu instid0(VALU_DEP_1)
	v_add_f64_e32 v[2:3], v[0:1], v[46:47]
	v_add_f64_e32 v[0:1], v[4:5], v[44:45]
	v_fma_f64 v[4:5], v[8:9], s[0:1], v[6:7]
	v_fma_f64 v[8:9], v[8:9], s[2:3], v[6:7]
	v_fma_f64 v[6:7], v[12:13], s[2:3], v[10:11]
	v_fma_f64 v[10:11], v[12:13], s[0:1], v[10:11]
	v_add_f64_e64 v[12:13], v[48:49], -v[52:53]
	s_wait_loadcnt 0x0
	ds_store_b128 v175, v[0:3]
	ds_store_b128 v175, v[4:7] offset:176
	ds_store_b128 v175, v[8:11] offset:352
	scratch_load_b32 v174, off, off offset:620 th:TH_LOAD_LU ; 4-byte Folded Reload
	v_add_f64_e32 v[0:1], v[48:49], v[52:53]
	v_add_f64_e32 v[4:5], v[20:21], v[48:49]
	v_add_f64_e64 v[8:9], v[50:51], -v[54:55]
	s_delay_alu instid0(VALU_DEP_3) | instskip(SKIP_1) | instid1(VALU_DEP_1)
	v_fma_f64 v[6:7], v[0:1], -0.5, v[20:21]
	v_add_f64_e32 v[0:1], v[50:51], v[54:55]
	v_fma_f64 v[10:11], v[0:1], -0.5, v[22:23]
	v_add_f64_e32 v[0:1], v[22:23], v[50:51]
	s_delay_alu instid0(VALU_DEP_1)
	v_add_f64_e32 v[2:3], v[0:1], v[54:55]
	v_add_f64_e32 v[0:1], v[4:5], v[52:53]
	v_fma_f64 v[4:5], v[8:9], s[0:1], v[6:7]
	v_fma_f64 v[8:9], v[8:9], s[2:3], v[6:7]
	v_fma_f64 v[6:7], v[12:13], s[2:3], v[10:11]
	v_fma_f64 v[10:11], v[12:13], s[0:1], v[10:11]
	v_add_f64_e64 v[12:13], v[56:57], -v[60:61]
	s_wait_loadcnt 0x0
	ds_store_b128 v174, v[0:3]
	ds_store_b128 v174, v[4:7] offset:176
	ds_store_b128 v174, v[8:11] offset:352
	scratch_load_b32 v175, off, off offset:584 th:TH_LOAD_LU ; 4-byte Folded Reload
	v_add_f64_e32 v[0:1], v[56:57], v[60:61]
	v_add_f64_e32 v[4:5], v[24:25], v[56:57]
	v_add_f64_e64 v[8:9], v[58:59], -v[62:63]
	s_delay_alu instid0(VALU_DEP_3) | instskip(SKIP_1) | instid1(VALU_DEP_1)
	;; [unrolled: 21-line block ×3, first 2 shown]
	v_fma_f64 v[6:7], v[0:1], -0.5, v[28:29]
	v_add_f64_e32 v[0:1], v[66:67], v[70:71]
	v_fma_f64 v[10:11], v[0:1], -0.5, v[30:31]
	v_add_f64_e32 v[0:1], v[30:31], v[66:67]
	s_delay_alu instid0(VALU_DEP_1)
	v_add_f64_e32 v[2:3], v[0:1], v[70:71]
	v_add_f64_e32 v[0:1], v[4:5], v[68:69]
	v_fma_f64 v[4:5], v[8:9], s[0:1], v[6:7]
	v_fma_f64 v[8:9], v[8:9], s[2:3], v[6:7]
	;; [unrolled: 1-line block ×4, first 2 shown]
	s_wait_loadcnt 0x0
	ds_store_b128 v174, v[0:3]
	ds_store_b128 v174, v[4:7] offset:176
	ds_store_b128 v174, v[8:11] offset:352
	global_wb scope:SCOPE_SE
	s_wait_dscnt 0x0
	s_barrier_signal -1
	s_barrier_wait -1
	global_inv scope:SCOPE_SE
	ds_load_b128 v[0:3], v168 offset:9504
	ds_load_b128 v[4:7], v168 offset:11088
	scratch_load_b128 v[14:17], off, off offset:304 th:TH_LOAD_LU ; 16-byte Folded Reload
	s_wait_loadcnt_dscnt 0x1
	v_mul_f64_e32 v[8:9], v[16:17], v[2:3]
	s_delay_alu instid0(VALU_DEP_1) | instskip(SKIP_1) | instid1(VALU_DEP_1)
	v_fma_f64 v[12:13], v[14:15], v[0:1], v[8:9]
	v_mul_f64_e32 v[0:1], v[16:17], v[0:1]
	v_fma_f64 v[14:15], v[14:15], v[2:3], -v[0:1]
	ds_load_b128 v[0:3], v168 offset:19008
	ds_load_b128 v[8:11], v168 offset:20592
	scratch_load_b128 v[18:21], off, off offset:352 th:TH_LOAD_LU ; 16-byte Folded Reload
	s_wait_loadcnt_dscnt 0x1
	v_mul_f64_e32 v[16:17], v[20:21], v[2:3]
	s_delay_alu instid0(VALU_DEP_1)
	v_fma_f64 v[16:17], v[18:19], v[0:1], v[16:17]
	v_mul_f64_e32 v[0:1], v[20:21], v[0:1]
	scratch_load_b128 v[20:23], off, off offset:416 th:TH_LOAD_LU ; 16-byte Folded Reload
	v_fma_f64 v[18:19], v[18:19], v[2:3], -v[0:1]
	s_wait_loadcnt 0x0
	v_mul_f64_e32 v[0:1], v[22:23], v[6:7]
	s_delay_alu instid0(VALU_DEP_1)
	v_fma_f64 v[32:33], v[20:21], v[4:5], v[0:1]
	v_mul_f64_e32 v[0:1], v[22:23], v[4:5]
	scratch_load_b128 v[2:5], off, off offset:400 th:TH_LOAD_LU ; 16-byte Folded Reload
	v_fma_f64 v[34:35], v[20:21], v[6:7], -v[0:1]
	s_wait_loadcnt_dscnt 0x0
	v_mul_f64_e32 v[0:1], v[4:5], v[10:11]
	s_delay_alu instid0(VALU_DEP_1) | instskip(SKIP_1) | instid1(VALU_DEP_1)
	v_fma_f64 v[36:37], v[2:3], v[8:9], v[0:1]
	v_mul_f64_e32 v[0:1], v[4:5], v[8:9]
	v_fma_f64 v[38:39], v[2:3], v[10:11], -v[0:1]
	ds_load_b128 v[0:3], v168 offset:12672
	ds_load_b128 v[4:7], v168 offset:14256
	scratch_load_b128 v[20:23], off, off offset:384 th:TH_LOAD_LU ; 16-byte Folded Reload
	s_wait_loadcnt_dscnt 0x1
	v_mul_f64_e32 v[8:9], v[22:23], v[2:3]
	s_delay_alu instid0(VALU_DEP_1) | instskip(SKIP_1) | instid1(VALU_DEP_1)
	v_fma_f64 v[40:41], v[20:21], v[0:1], v[8:9]
	v_mul_f64_e32 v[0:1], v[22:23], v[0:1]
	v_fma_f64 v[42:43], v[20:21], v[2:3], -v[0:1]
	ds_load_b128 v[0:3], v168 offset:22176
	ds_load_b128 v[8:11], v168 offset:23760
	scratch_load_b128 v[22:25], off, off offset:368 th:TH_LOAD_LU ; 16-byte Folded Reload
	s_wait_loadcnt_dscnt 0x1
	v_mul_f64_e32 v[20:21], v[24:25], v[2:3]
	s_delay_alu instid0(VALU_DEP_1) | instskip(SKIP_1) | instid1(VALU_DEP_1)
	v_fma_f64 v[44:45], v[22:23], v[0:1], v[20:21]
	v_mul_f64_e32 v[0:1], v[24:25], v[0:1]
	v_fma_f64 v[46:47], v[22:23], v[2:3], -v[0:1]
	scratch_load_b128 v[20:23], off, off offset:464 th:TH_LOAD_LU ; 16-byte Folded Reload
	s_wait_loadcnt 0x0
	v_mul_f64_e32 v[0:1], v[22:23], v[6:7]
	s_delay_alu instid0(VALU_DEP_1)
	v_fma_f64 v[48:49], v[20:21], v[4:5], v[0:1]
	v_mul_f64_e32 v[0:1], v[22:23], v[4:5]
	scratch_load_b128 v[2:5], off, off offset:432 th:TH_LOAD_LU ; 16-byte Folded Reload
	v_fma_f64 v[50:51], v[20:21], v[6:7], -v[0:1]
	s_wait_loadcnt_dscnt 0x0
	v_mul_f64_e32 v[0:1], v[4:5], v[10:11]
	s_delay_alu instid0(VALU_DEP_1) | instskip(SKIP_1) | instid1(VALU_DEP_1)
	v_fma_f64 v[52:53], v[2:3], v[8:9], v[0:1]
	v_mul_f64_e32 v[0:1], v[4:5], v[8:9]
	v_fma_f64 v[54:55], v[2:3], v[10:11], -v[0:1]
	ds_load_b128 v[0:3], v168 offset:15840
	ds_load_b128 v[4:7], v168 offset:17424
	scratch_load_b128 v[20:23], off, off offset:448 th:TH_LOAD_LU ; 16-byte Folded Reload
	s_wait_loadcnt_dscnt 0x1
	v_mul_f64_e32 v[8:9], v[22:23], v[2:3]
	s_delay_alu instid0(VALU_DEP_1) | instskip(SKIP_1) | instid1(VALU_DEP_1)
	v_fma_f64 v[56:57], v[20:21], v[0:1], v[8:9]
	v_mul_f64_e32 v[0:1], v[22:23], v[0:1]
	v_fma_f64 v[58:59], v[20:21], v[2:3], -v[0:1]
	ds_load_b128 v[0:3], v168 offset:25344
	ds_load_b128 v[8:11], v168 offset:26928
	scratch_load_b128 v[22:25], off, off offset:288 th:TH_LOAD_LU ; 16-byte Folded Reload
	s_wait_loadcnt_dscnt 0x1
	v_mul_f64_e32 v[20:21], v[24:25], v[2:3]
	s_delay_alu instid0(VALU_DEP_1) | instskip(SKIP_1) | instid1(VALU_DEP_1)
	v_fma_f64 v[60:61], v[22:23], v[0:1], v[20:21]
	v_mul_f64_e32 v[0:1], v[24:25], v[0:1]
	v_fma_f64 v[62:63], v[22:23], v[2:3], -v[0:1]
	scratch_load_b128 v[20:23], off, off offset:336 th:TH_LOAD_LU ; 16-byte Folded Reload
	s_wait_loadcnt 0x0
	v_mul_f64_e32 v[0:1], v[22:23], v[6:7]
	s_delay_alu instid0(VALU_DEP_1)
	v_fma_f64 v[64:65], v[20:21], v[4:5], v[0:1]
	v_mul_f64_e32 v[0:1], v[22:23], v[4:5]
	scratch_load_b128 v[2:5], off, off offset:320 th:TH_LOAD_LU ; 16-byte Folded Reload
	v_fma_f64 v[66:67], v[20:21], v[6:7], -v[0:1]
	s_wait_loadcnt_dscnt 0x0
	v_mul_f64_e32 v[0:1], v[4:5], v[10:11]
	s_delay_alu instid0(VALU_DEP_1) | instskip(SKIP_2) | instid1(VALU_DEP_2)
	v_fma_f64 v[68:69], v[2:3], v[8:9], v[0:1]
	v_mul_f64_e32 v[0:1], v[4:5], v[8:9]
	v_add_f64_e32 v[8:9], v[12:13], v[16:17]
	v_fma_f64 v[70:71], v[2:3], v[10:11], -v[0:1]
	ds_load_b128 v[0:3], v168
	ds_load_b128 v[4:7], v168 offset:1584
	s_wait_dscnt 0x1
	v_fma_f64 v[10:11], v[8:9], -0.5, v[0:1]
	v_add_f64_e32 v[8:9], v[14:15], v[18:19]
	v_add_f64_e32 v[0:1], v[0:1], v[12:13]
	s_delay_alu instid0(VALU_DEP_2) | instskip(SKIP_2) | instid1(VALU_DEP_4)
	v_fma_f64 v[20:21], v[8:9], -0.5, v[2:3]
	v_add_f64_e32 v[2:3], v[2:3], v[14:15]
	v_add_f64_e64 v[14:15], v[14:15], -v[18:19]
	v_add_f64_e32 v[0:1], v[0:1], v[16:17]
	v_add_f64_e64 v[16:17], v[12:13], -v[16:17]
	s_delay_alu instid0(VALU_DEP_4) | instskip(NEXT) | instid1(VALU_DEP_4)
	v_add_f64_e32 v[2:3], v[2:3], v[18:19]
	v_fma_f64 v[8:9], v[14:15], s[0:1], v[10:11]
	v_fma_f64 v[12:13], v[14:15], s[2:3], v[10:11]
	s_delay_alu instid0(VALU_DEP_4)
	v_fma_f64 v[10:11], v[16:17], s[2:3], v[20:21]
	v_fma_f64 v[14:15], v[16:17], s[0:1], v[20:21]
	ds_load_b128 v[16:19], v168 offset:3168
	ds_load_b128 v[20:23], v168 offset:4752
	;; [unrolled: 1-line block ×4, first 2 shown]
	global_wb scope:SCOPE_SE
	s_wait_dscnt 0x0
	s_barrier_signal -1
	s_barrier_wait -1
	global_inv scope:SCOPE_SE
	scratch_load_b32 v72, off, off offset:744 th:TH_LOAD_LU ; 4-byte Folded Reload
	s_wait_loadcnt 0x0
	ds_store_b128 v72, v[0:3]
	ds_store_b128 v72, v[8:11] offset:528
	ds_store_b128 v72, v[12:15] offset:1056
	v_add_f64_e32 v[0:1], v[32:33], v[36:37]
	v_add_f64_e64 v[12:13], v[32:33], -v[36:37]
	s_delay_alu instid0(VALU_DEP_2) | instskip(SKIP_2) | instid1(VALU_DEP_2)
	v_fma_f64 v[8:9], v[0:1], -0.5, v[4:5]
	v_add_f64_e32 v[0:1], v[34:35], v[38:39]
	v_add_f64_e32 v[4:5], v[4:5], v[32:33]
	v_fma_f64 v[10:11], v[0:1], -0.5, v[6:7]
	v_add_f64_e32 v[0:1], v[6:7], v[34:35]
	v_add_f64_e64 v[6:7], v[34:35], -v[38:39]
	s_delay_alu instid0(VALU_DEP_2) | instskip(SKIP_1) | instid1(VALU_DEP_3)
	v_add_f64_e32 v[2:3], v[0:1], v[38:39]
	v_add_f64_e32 v[0:1], v[4:5], v[36:37]
	v_fma_f64 v[4:5], v[6:7], s[0:1], v[8:9]
	v_fma_f64 v[8:9], v[6:7], s[2:3], v[8:9]
	v_fma_f64 v[6:7], v[12:13], s[2:3], v[10:11]
	v_fma_f64 v[10:11], v[12:13], s[0:1], v[10:11]
	scratch_load_b32 v12, off, off offset:740 th:TH_LOAD_LU ; 4-byte Folded Reload
	s_wait_loadcnt 0x0
	ds_store_b128 v12, v[0:3]
	ds_store_b128 v12, v[4:7] offset:528
	ds_store_b128 v12, v[8:11] offset:1056
	v_add_f64_e32 v[0:1], v[40:41], v[44:45]
	v_add_f64_e32 v[4:5], v[16:17], v[40:41]
	v_add_f64_e64 v[8:9], v[42:43], -v[46:47]
	v_add_f64_e64 v[12:13], v[40:41], -v[44:45]
	s_delay_alu instid0(VALU_DEP_4) | instskip(SKIP_1) | instid1(VALU_DEP_1)
	v_fma_f64 v[6:7], v[0:1], -0.5, v[16:17]
	v_add_f64_e32 v[0:1], v[42:43], v[46:47]
	v_fma_f64 v[10:11], v[0:1], -0.5, v[18:19]
	v_add_f64_e32 v[0:1], v[18:19], v[42:43]
	s_delay_alu instid0(VALU_DEP_1)
	v_add_f64_e32 v[2:3], v[0:1], v[46:47]
	v_add_f64_e32 v[0:1], v[4:5], v[44:45]
	v_fma_f64 v[4:5], v[8:9], s[0:1], v[6:7]
	v_fma_f64 v[8:9], v[8:9], s[2:3], v[6:7]
	v_fma_f64 v[6:7], v[12:13], s[2:3], v[10:11]
	v_fma_f64 v[10:11], v[12:13], s[0:1], v[10:11]
	scratch_load_b32 v12, off, off offset:736 th:TH_LOAD_LU ; 4-byte Folded Reload
	s_wait_loadcnt 0x0
	ds_store_b128 v12, v[0:3]
	ds_store_b128 v12, v[4:7] offset:528
	ds_store_b128 v12, v[8:11] offset:1056
	v_add_f64_e32 v[0:1], v[48:49], v[52:53]
	v_add_f64_e32 v[4:5], v[20:21], v[48:49]
	v_add_f64_e64 v[8:9], v[50:51], -v[54:55]
	v_add_f64_e64 v[12:13], v[48:49], -v[52:53]
	s_delay_alu instid0(VALU_DEP_4) | instskip(SKIP_1) | instid1(VALU_DEP_1)
	v_fma_f64 v[6:7], v[0:1], -0.5, v[20:21]
	v_add_f64_e32 v[0:1], v[50:51], v[54:55]
	v_fma_f64 v[10:11], v[0:1], -0.5, v[22:23]
	v_add_f64_e32 v[0:1], v[22:23], v[50:51]
	s_delay_alu instid0(VALU_DEP_1)
	v_add_f64_e32 v[2:3], v[0:1], v[54:55]
	v_add_f64_e32 v[0:1], v[4:5], v[52:53]
	v_fma_f64 v[4:5], v[8:9], s[0:1], v[6:7]
	v_fma_f64 v[8:9], v[8:9], s[2:3], v[6:7]
	v_fma_f64 v[6:7], v[12:13], s[2:3], v[10:11]
	v_fma_f64 v[10:11], v[12:13], s[0:1], v[10:11]
	scratch_load_b32 v12, off, off offset:728 th:TH_LOAD_LU ; 4-byte Folded Reload
	s_wait_loadcnt 0x0
	ds_store_b128 v12, v[0:3]
	ds_store_b128 v12, v[4:7] offset:528
	ds_store_b128 v12, v[8:11] offset:1056
	v_add_f64_e32 v[0:1], v[56:57], v[60:61]
	v_add_f64_e32 v[4:5], v[24:25], v[56:57]
	v_add_f64_e64 v[8:9], v[58:59], -v[62:63]
	v_add_f64_e64 v[12:13], v[56:57], -v[60:61]
	s_delay_alu instid0(VALU_DEP_4) | instskip(SKIP_1) | instid1(VALU_DEP_1)
	v_fma_f64 v[6:7], v[0:1], -0.5, v[24:25]
	v_add_f64_e32 v[0:1], v[58:59], v[62:63]
	v_fma_f64 v[10:11], v[0:1], -0.5, v[26:27]
	v_add_f64_e32 v[0:1], v[26:27], v[58:59]
	s_delay_alu instid0(VALU_DEP_1)
	v_add_f64_e32 v[2:3], v[0:1], v[62:63]
	v_add_f64_e32 v[0:1], v[4:5], v[60:61]
	v_fma_f64 v[4:5], v[8:9], s[0:1], v[6:7]
	v_fma_f64 v[8:9], v[8:9], s[2:3], v[6:7]
	v_fma_f64 v[6:7], v[12:13], s[2:3], v[10:11]
	v_fma_f64 v[10:11], v[12:13], s[0:1], v[10:11]
	scratch_load_b32 v12, off, off offset:720 th:TH_LOAD_LU ; 4-byte Folded Reload
	s_wait_loadcnt 0x0
	ds_store_b128 v12, v[0:3]
	ds_store_b128 v12, v[4:7] offset:528
	ds_store_b128 v12, v[8:11] offset:1056
	v_add_f64_e32 v[0:1], v[64:65], v[68:69]
	v_add_f64_e32 v[4:5], v[28:29], v[64:65]
	v_add_f64_e64 v[8:9], v[66:67], -v[70:71]
	v_add_f64_e64 v[12:13], v[64:65], -v[68:69]
	s_delay_alu instid0(VALU_DEP_4) | instskip(SKIP_1) | instid1(VALU_DEP_1)
	v_fma_f64 v[6:7], v[0:1], -0.5, v[28:29]
	v_add_f64_e32 v[0:1], v[66:67], v[70:71]
	v_fma_f64 v[10:11], v[0:1], -0.5, v[30:31]
	v_add_f64_e32 v[0:1], v[30:31], v[66:67]
	s_delay_alu instid0(VALU_DEP_1)
	v_add_f64_e32 v[2:3], v[0:1], v[70:71]
	v_add_f64_e32 v[0:1], v[4:5], v[68:69]
	v_fma_f64 v[4:5], v[8:9], s[0:1], v[6:7]
	v_fma_f64 v[8:9], v[8:9], s[2:3], v[6:7]
	;; [unrolled: 1-line block ×4, first 2 shown]
	scratch_load_b32 v12, off, off offset:716 th:TH_LOAD_LU ; 4-byte Folded Reload
	s_wait_loadcnt 0x0
	ds_store_b128 v12, v[0:3]
	ds_store_b128 v12, v[4:7] offset:528
	ds_store_b128 v12, v[8:11] offset:1056
	global_wb scope:SCOPE_SE
	s_wait_dscnt 0x0
	s_barrier_signal -1
	s_barrier_wait -1
	global_inv scope:SCOPE_SE
	ds_load_b128 v[0:3], v168 offset:9504
	ds_load_b128 v[4:7], v168 offset:11088
	s_wait_dscnt 0x1
	v_mul_f64_e32 v[8:9], v[142:143], v[2:3]
	s_delay_alu instid0(VALU_DEP_1) | instskip(SKIP_1) | instid1(VALU_DEP_1)
	v_fma_f64 v[12:13], v[140:141], v[0:1], v[8:9]
	v_mul_f64_e32 v[0:1], v[142:143], v[0:1]
	v_fma_f64 v[14:15], v[140:141], v[2:3], -v[0:1]
	s_wait_dscnt 0x0
	v_mul_f64_e32 v[0:1], v[142:143], v[6:7]
	s_delay_alu instid0(VALU_DEP_1) | instskip(SKIP_1) | instid1(VALU_DEP_1)
	v_fma_f64 v[16:17], v[140:141], v[4:5], v[0:1]
	v_mul_f64_e32 v[0:1], v[142:143], v[4:5]
	v_fma_f64 v[18:19], v[140:141], v[6:7], -v[0:1]
	ds_load_b128 v[0:3], v168 offset:19008
	ds_load_b128 v[4:7], v168 offset:20592
	s_wait_dscnt 0x1
	v_mul_f64_e32 v[8:9], v[166:167], v[2:3]
	s_delay_alu instid0(VALU_DEP_1) | instskip(SKIP_1) | instid1(VALU_DEP_1)
	v_fma_f64 v[20:21], v[164:165], v[0:1], v[8:9]
	v_mul_f64_e32 v[0:1], v[166:167], v[0:1]
	v_fma_f64 v[22:23], v[164:165], v[2:3], -v[0:1]
	s_wait_dscnt 0x0
	v_mul_f64_e32 v[0:1], v[166:167], v[6:7]
	s_delay_alu instid0(VALU_DEP_1) | instskip(SKIP_1) | instid1(VALU_DEP_1)
	v_fma_f64 v[24:25], v[164:165], v[4:5], v[0:1]
	v_mul_f64_e32 v[0:1], v[166:167], v[4:5]
	v_fma_f64 v[26:27], v[164:165], v[6:7], -v[0:1]
	ds_load_b128 v[0:3], v168 offset:12672
	ds_load_b128 v[4:7], v168 offset:14256
	scratch_load_b128 v[28:31], off, off offset:692 th:TH_LOAD_LU ; 16-byte Folded Reload
	s_wait_loadcnt_dscnt 0x1
	v_mul_f64_e32 v[8:9], v[30:31], v[2:3]
	s_delay_alu instid0(VALU_DEP_1) | instskip(SKIP_1) | instid1(VALU_DEP_1)
	v_fma_f64 v[32:33], v[28:29], v[0:1], v[8:9]
	v_mul_f64_e32 v[0:1], v[30:31], v[0:1]
	v_fma_f64 v[34:35], v[28:29], v[2:3], -v[0:1]
	ds_load_b128 v[0:3], v168 offset:22176
	ds_load_b128 v[8:11], v168 offset:23760
	scratch_load_b128 v[38:41], off, off offset:676 th:TH_LOAD_LU ; 16-byte Folded Reload
	s_wait_loadcnt_dscnt 0x1
	v_mul_f64_e32 v[28:29], v[40:41], v[2:3]
	s_delay_alu instid0(VALU_DEP_1) | instskip(SKIP_1) | instid1(VALU_DEP_2)
	v_fma_f64 v[36:37], v[38:39], v[0:1], v[28:29]
	v_mul_f64_e32 v[0:1], v[40:41], v[0:1]
	v_add_f64_e32 v[40:41], v[32:33], v[36:37]
	s_delay_alu instid0(VALU_DEP_2) | instskip(SKIP_1) | instid1(VALU_DEP_2)
	v_fma_f64 v[38:39], v[38:39], v[2:3], -v[0:1]
	v_mul_f64_e32 v[0:1], v[198:199], v[6:7]
	v_add_f64_e32 v[42:43], v[34:35], v[38:39]
	s_delay_alu instid0(VALU_DEP_2) | instskip(SKIP_2) | instid1(VALU_DEP_2)
	v_fma_f64 v[48:49], v[196:197], v[4:5], v[0:1]
	v_mul_f64_e32 v[0:1], v[198:199], v[4:5]
	v_add_f64_e64 v[44:45], v[34:35], -v[38:39]
	v_fma_f64 v[50:51], v[196:197], v[6:7], -v[0:1]
	s_wait_dscnt 0x0
	v_mul_f64_e32 v[0:1], v[190:191], v[10:11]
	s_delay_alu instid0(VALU_DEP_1) | instskip(SKIP_1) | instid1(VALU_DEP_1)
	v_fma_f64 v[52:53], v[188:189], v[8:9], v[0:1]
	v_mul_f64_e32 v[0:1], v[190:191], v[8:9]
	v_fma_f64 v[54:55], v[188:189], v[10:11], -v[0:1]
	ds_load_b128 v[0:3], v168 offset:15840
	ds_load_b128 v[4:7], v168 offset:17424
	s_wait_dscnt 0x1
	v_mul_f64_e32 v[8:9], v[194:195], v[2:3]
	s_delay_alu instid0(VALU_DEP_1) | instskip(SKIP_1) | instid1(VALU_DEP_1)
	v_fma_f64 v[56:57], v[192:193], v[0:1], v[8:9]
	v_mul_f64_e32 v[0:1], v[194:195], v[0:1]
	v_fma_f64 v[58:59], v[192:193], v[2:3], -v[0:1]
	ds_load_b128 v[0:3], v168 offset:25344
	ds_load_b128 v[8:11], v168 offset:26928
	s_wait_dscnt 0x1
	v_mul_f64_e32 v[28:29], v[186:187], v[2:3]
	s_delay_alu instid0(VALU_DEP_1) | instskip(SKIP_1) | instid1(VALU_DEP_1)
	v_fma_f64 v[60:61], v[184:185], v[0:1], v[28:29]
	v_mul_f64_e32 v[0:1], v[186:187], v[0:1]
	v_fma_f64 v[62:63], v[184:185], v[2:3], -v[0:1]
	v_mul_f64_e32 v[0:1], v[230:231], v[6:7]
	s_delay_alu instid0(VALU_DEP_1) | instskip(SKIP_1) | instid1(VALU_DEP_1)
	v_fma_f64 v[64:65], v[228:229], v[4:5], v[0:1]
	v_mul_f64_e32 v[0:1], v[230:231], v[4:5]
	v_fma_f64 v[66:67], v[228:229], v[6:7], -v[0:1]
	s_wait_dscnt 0x0
	v_mul_f64_e32 v[0:1], v[222:223], v[10:11]
	s_delay_alu instid0(VALU_DEP_1) | instskip(SKIP_2) | instid1(VALU_DEP_2)
	v_fma_f64 v[68:69], v[220:221], v[8:9], v[0:1]
	v_mul_f64_e32 v[0:1], v[222:223], v[8:9]
	v_add_f64_e32 v[8:9], v[12:13], v[20:21]
	v_fma_f64 v[70:71], v[220:221], v[10:11], -v[0:1]
	ds_load_b128 v[0:3], v168
	ds_load_b128 v[4:7], v168 offset:1584
	s_wait_dscnt 0x1
	v_fma_f64 v[10:11], v[8:9], -0.5, v[0:1]
	v_add_f64_e32 v[8:9], v[14:15], v[22:23]
	v_add_f64_e32 v[0:1], v[0:1], v[12:13]
	s_delay_alu instid0(VALU_DEP_2) | instskip(SKIP_2) | instid1(VALU_DEP_4)
	v_fma_f64 v[28:29], v[8:9], -0.5, v[2:3]
	v_add_f64_e32 v[2:3], v[2:3], v[14:15]
	v_add_f64_e64 v[14:15], v[14:15], -v[22:23]
	v_add_f64_e32 v[0:1], v[0:1], v[20:21]
	v_add_f64_e64 v[20:21], v[12:13], -v[20:21]
	s_delay_alu instid0(VALU_DEP_4) | instskip(NEXT) | instid1(VALU_DEP_4)
	v_add_f64_e32 v[2:3], v[2:3], v[22:23]
	v_fma_f64 v[8:9], v[14:15], s[0:1], v[10:11]
	v_fma_f64 v[12:13], v[14:15], s[2:3], v[10:11]
	s_delay_alu instid0(VALU_DEP_4) | instskip(SKIP_4) | instid1(VALU_DEP_2)
	v_fma_f64 v[10:11], v[20:21], s[2:3], v[28:29]
	v_fma_f64 v[14:15], v[20:21], s[0:1], v[28:29]
	v_add_f64_e32 v[20:21], v[16:17], v[24:25]
	v_add_f64_e32 v[22:23], v[18:19], v[26:27]
	s_wait_dscnt 0x0
	v_fma_f64 v[20:21], v[20:21], -0.5, v[4:5]
	v_add_f64_e32 v[4:5], v[4:5], v[16:17]
	s_delay_alu instid0(VALU_DEP_3) | instskip(SKIP_2) | instid1(VALU_DEP_4)
	v_fma_f64 v[22:23], v[22:23], -0.5, v[6:7]
	v_add_f64_e32 v[6:7], v[6:7], v[18:19]
	v_add_f64_e64 v[18:19], v[18:19], -v[26:27]
	v_add_f64_e32 v[4:5], v[4:5], v[24:25]
	v_add_f64_e64 v[24:25], v[16:17], -v[24:25]
	s_delay_alu instid0(VALU_DEP_4) | instskip(NEXT) | instid1(VALU_DEP_4)
	v_add_f64_e32 v[6:7], v[6:7], v[26:27]
	v_fma_f64 v[16:17], v[18:19], s[0:1], v[20:21]
	v_fma_f64 v[20:21], v[18:19], s[2:3], v[20:21]
	s_delay_alu instid0(VALU_DEP_4)
	v_fma_f64 v[18:19], v[24:25], s[2:3], v[22:23]
	v_fma_f64 v[22:23], v[24:25], s[0:1], v[22:23]
	ds_load_b128 v[24:27], v168 offset:3168
	ds_load_b128 v[28:31], v168 offset:4752
	s_wait_dscnt 0x1
	v_fma_f64 v[42:43], v[42:43], -0.5, v[26:27]
	v_add_f64_e32 v[26:27], v[26:27], v[34:35]
	v_fma_f64 v[40:41], v[40:41], -0.5, v[24:25]
	v_add_f64_e32 v[24:25], v[24:25], v[32:33]
	s_delay_alu instid0(VALU_DEP_3) | instskip(SKIP_1) | instid1(VALU_DEP_3)
	v_add_f64_e32 v[26:27], v[26:27], v[38:39]
	v_add_f64_e64 v[38:39], v[32:33], -v[36:37]
	v_add_f64_e32 v[24:25], v[24:25], v[36:37]
	v_fma_f64 v[32:33], v[44:45], s[0:1], v[40:41]
	v_fma_f64 v[36:37], v[44:45], s[2:3], v[40:41]
	s_delay_alu instid0(VALU_DEP_4)
	v_fma_f64 v[34:35], v[38:39], s[2:3], v[42:43]
	v_fma_f64 v[38:39], v[38:39], s[0:1], v[42:43]
	ds_load_b128 v[40:43], v168 offset:6336
	ds_load_b128 v[44:47], v168 offset:7920
	global_wb scope:SCOPE_SE
	s_wait_dscnt 0x0
	s_barrier_signal -1
	s_barrier_wait -1
	global_inv scope:SCOPE_SE
	ds_store_b128 v168, v[0:3]
	ds_store_b128 v168, v[8:11] offset:1584
	ds_store_b128 v168, v[4:7] offset:4752
	;; [unrolled: 1-line block ×5, first 2 shown]
	scratch_load_b32 v6, off, off offset:732 th:TH_LOAD_LU ; 4-byte Folded Reload
	v_add_f64_e32 v[0:1], v[30:31], v[50:51]
	v_add_f64_e32 v[4:5], v[28:29], v[48:49]
	v_add_f64_e64 v[8:9], v[50:51], -v[54:55]
	v_add_f64_e64 v[12:13], v[48:49], -v[52:53]
	;; [unrolled: 1-line block ×3, first 2 shown]
	s_wait_loadcnt 0x0
	ds_store_b128 v6, v[24:27] offset:9504
	ds_store_b128 v6, v[32:35] offset:11088
	v_add_f64_e32 v[2:3], v[0:1], v[54:55]
	v_add_f64_e32 v[0:1], v[4:5], v[52:53]
	;; [unrolled: 1-line block ×3, first 2 shown]
	ds_store_b128 v6, v[36:39] offset:12672
	v_fma_f64 v[6:7], v[4:5], -0.5, v[28:29]
	v_add_f64_e32 v[4:5], v[50:51], v[54:55]
	s_delay_alu instid0(VALU_DEP_1) | instskip(NEXT) | instid1(VALU_DEP_3)
	v_fma_f64 v[10:11], v[4:5], -0.5, v[30:31]
	v_fma_f64 v[4:5], v[8:9], s[0:1], v[6:7]
	v_fma_f64 v[8:9], v[8:9], s[2:3], v[6:7]
	s_delay_alu instid0(VALU_DEP_3)
	v_fma_f64 v[6:7], v[12:13], s[2:3], v[10:11]
	v_fma_f64 v[10:11], v[12:13], s[0:1], v[10:11]
	scratch_load_b32 v12, off, off offset:724 th:TH_LOAD_LU ; 4-byte Folded Reload
	s_wait_loadcnt 0x0
	ds_store_b128 v12, v[0:3] offset:14256
	ds_store_b128 v12, v[4:7] offset:15840
	ds_store_b128 v12, v[8:11] offset:17424
	v_add_f64_e32 v[0:1], v[56:57], v[60:61]
	v_add_f64_e32 v[4:5], v[40:41], v[56:57]
	v_add_f64_e64 v[12:13], v[58:59], -v[62:63]
	s_delay_alu instid0(VALU_DEP_3) | instskip(SKIP_1) | instid1(VALU_DEP_1)
	v_fma_f64 v[8:9], v[0:1], -0.5, v[40:41]
	v_add_f64_e32 v[0:1], v[58:59], v[62:63]
	v_fma_f64 v[10:11], v[0:1], -0.5, v[42:43]
	v_add_f64_e32 v[0:1], v[42:43], v[58:59]
	s_delay_alu instid0(VALU_DEP_2) | instskip(NEXT) | instid1(VALU_DEP_2)
	v_fma_f64 v[6:7], v[14:15], s[2:3], v[10:11]
	v_add_f64_e32 v[2:3], v[0:1], v[62:63]
	v_add_f64_e32 v[0:1], v[4:5], v[60:61]
	v_fma_f64 v[4:5], v[12:13], s[0:1], v[8:9]
	v_fma_f64 v[8:9], v[12:13], s[2:3], v[8:9]
	scratch_load_b32 v12, off, off offset:712 th:TH_LOAD_LU ; 4-byte Folded Reload
	v_fma_f64 v[10:11], v[14:15], s[0:1], v[10:11]
	s_wait_loadcnt 0x0
	ds_store_b128 v12, v[0:3] offset:19008
	ds_store_b128 v12, v[4:7] offset:20592
	v_add_f64_e32 v[0:1], v[46:47], v[66:67]
	v_add_f64_e32 v[4:5], v[44:45], v[64:65]
	ds_store_b128 v12, v[8:11] offset:22176
	v_add_f64_e64 v[8:9], v[66:67], -v[70:71]
	v_add_f64_e64 v[12:13], v[64:65], -v[68:69]
	v_add_f64_e32 v[2:3], v[0:1], v[70:71]
	v_add_f64_e32 v[0:1], v[4:5], v[68:69]
	;; [unrolled: 1-line block ×3, first 2 shown]
	s_delay_alu instid0(VALU_DEP_1) | instskip(SKIP_1) | instid1(VALU_DEP_1)
	v_fma_f64 v[6:7], v[4:5], -0.5, v[44:45]
	v_add_f64_e32 v[4:5], v[66:67], v[70:71]
	v_fma_f64 v[10:11], v[4:5], -0.5, v[46:47]
	s_delay_alu instid0(VALU_DEP_3) | instskip(SKIP_1) | instid1(VALU_DEP_3)
	v_fma_f64 v[4:5], v[8:9], s[0:1], v[6:7]
	v_fma_f64 v[8:9], v[8:9], s[2:3], v[6:7]
	;; [unrolled: 1-line block ×4, first 2 shown]
	scratch_load_b32 v12, off, off offset:708 th:TH_LOAD_LU ; 4-byte Folded Reload
	s_wait_loadcnt 0x0
	ds_store_b128 v12, v[0:3] offset:23760
	ds_store_b128 v12, v[4:7] offset:25344
	;; [unrolled: 1-line block ×3, first 2 shown]
	global_wb scope:SCOPE_SE
	s_wait_dscnt 0x0
	s_barrier_signal -1
	s_barrier_wait -1
	global_inv scope:SCOPE_SE
	ds_load_b128 v[0:3], v168 offset:9504
	ds_load_b128 v[4:7], v168 offset:11088
	s_wait_dscnt 0x1
	v_mul_f64_e32 v[8:9], v[178:179], v[2:3]
	s_delay_alu instid0(VALU_DEP_1) | instskip(SKIP_1) | instid1(VALU_DEP_1)
	v_fma_f64 v[20:21], v[176:177], v[0:1], v[8:9]
	v_mul_f64_e32 v[0:1], v[178:179], v[0:1]
	v_fma_f64 v[22:23], v[176:177], v[2:3], -v[0:1]
	ds_load_b128 v[0:3], v168 offset:14256
	ds_load_b128 v[8:11], v168 offset:12672
	s_wait_dscnt 0x1
	v_mul_f64_e32 v[12:13], v[178:179], v[2:3]
	s_delay_alu instid0(VALU_DEP_1) | instskip(SKIP_1) | instid1(VALU_DEP_1)
	v_fma_f64 v[40:41], v[176:177], v[0:1], v[12:13]
	v_mul_f64_e32 v[0:1], v[178:179], v[0:1]
	v_fma_f64 v[42:43], v[176:177], v[2:3], -v[0:1]
	;; [unrolled: 8-line block ×4, first 2 shown]
	v_mul_f64_e32 v[0:1], v[218:219], v[6:7]
	s_delay_alu instid0(VALU_DEP_1) | instskip(SKIP_1) | instid1(VALU_DEP_1)
	v_fma_f64 v[28:29], v[216:217], v[4:5], v[0:1]
	v_mul_f64_e32 v[0:1], v[218:219], v[4:5]
	v_fma_f64 v[30:31], v[216:217], v[6:7], -v[0:1]
	ds_load_b128 v[0:3], v168 offset:15840
	ds_load_b128 v[4:7], v168 offset:17424
	s_wait_dscnt 0x1
	v_mul_f64_e32 v[32:33], v[218:219], v[2:3]
	s_delay_alu instid0(VALU_DEP_1) | instskip(SKIP_1) | instid1(VALU_DEP_1)
	v_fma_f64 v[56:57], v[216:217], v[0:1], v[32:33]
	v_mul_f64_e32 v[0:1], v[218:219], v[0:1]
	v_fma_f64 v[58:59], v[216:217], v[2:3], -v[0:1]
	v_mul_f64_e32 v[0:1], v[206:207], v[14:15]
	s_delay_alu instid0(VALU_DEP_1) | instskip(SKIP_1) | instid1(VALU_DEP_1)
	v_fma_f64 v[32:33], v[204:205], v[12:13], v[0:1]
	v_mul_f64_e32 v[0:1], v[206:207], v[12:13]
	v_fma_f64 v[34:35], v[204:205], v[14:15], -v[0:1]
	ds_load_b128 v[0:3], v168 offset:25344
	ds_load_b128 v[12:15], v168 offset:26928
	s_wait_dscnt 0x1
	v_mul_f64_e32 v[36:37], v[206:207], v[2:3]
	s_delay_alu instid0(VALU_DEP_1) | instskip(SKIP_1) | instid1(VALU_DEP_2)
	v_fma_f64 v[60:61], v[204:205], v[0:1], v[36:37]
	v_mul_f64_e32 v[0:1], v[206:207], v[0:1]
	v_add_f64_e32 v[72:73], v[56:57], v[60:61]
	s_delay_alu instid0(VALU_DEP_2) | instskip(SKIP_1) | instid1(VALU_DEP_2)
	v_fma_f64 v[62:63], v[204:205], v[2:3], -v[0:1]
	v_mul_f64_e32 v[0:1], v[210:211], v[10:11]
	v_add_f64_e32 v[74:75], v[58:59], v[62:63]
	s_delay_alu instid0(VALU_DEP_2) | instskip(SKIP_2) | instid1(VALU_DEP_2)
	v_fma_f64 v[36:37], v[208:209], v[8:9], v[0:1]
	v_mul_f64_e32 v[0:1], v[210:211], v[8:9]
	v_add_f64_e32 v[8:9], v[20:21], v[24:25]
	v_fma_f64 v[38:39], v[208:209], v[10:11], -v[0:1]
	v_mul_f64_e32 v[0:1], v[210:211], v[6:7]
	s_delay_alu instid0(VALU_DEP_1) | instskip(SKIP_1) | instid1(VALU_DEP_1)
	v_fma_f64 v[64:65], v[208:209], v[4:5], v[0:1]
	v_mul_f64_e32 v[0:1], v[210:211], v[4:5]
	v_fma_f64 v[66:67], v[208:209], v[6:7], -v[0:1]
	v_mul_f64_e32 v[0:1], v[214:215], v[18:19]
	s_delay_alu instid0(VALU_DEP_1) | instskip(SKIP_2) | instid1(VALU_DEP_2)
	v_fma_f64 v[48:49], v[212:213], v[16:17], v[0:1]
	v_mul_f64_e32 v[0:1], v[214:215], v[16:17]
	v_add_f64_e64 v[16:17], v[20:21], -v[24:25]
	v_fma_f64 v[50:51], v[212:213], v[18:19], -v[0:1]
	s_wait_dscnt 0x0
	v_mul_f64_e32 v[0:1], v[214:215], v[14:15]
	s_delay_alu instid0(VALU_DEP_1) | instskip(SKIP_2) | instid1(VALU_DEP_2)
	v_fma_f64 v[68:69], v[212:213], v[12:13], v[0:1]
	v_mul_f64_e32 v[0:1], v[214:215], v[12:13]
	v_add_f64_e64 v[12:13], v[22:23], -v[26:27]
	v_fma_f64 v[70:71], v[212:213], v[14:15], -v[0:1]
	ds_load_b128 v[0:3], v168
	ds_load_b128 v[4:7], v168 offset:1584
	s_wait_dscnt 0x1
	v_fma_f64 v[10:11], v[8:9], -0.5, v[0:1]
	v_add_f64_e32 v[8:9], v[22:23], v[26:27]
	v_add_f64_e32 v[0:1], v[0:1], v[20:21]
	v_add_f64_e64 v[20:21], v[30:31], -v[34:35]
	v_add_f64_e64 v[76:77], v[66:67], -v[70:71]
	s_delay_alu instid0(VALU_DEP_4)
	v_fma_f64 v[14:15], v[8:9], -0.5, v[2:3]
	v_fma_f64 v[8:9], v[12:13], s[0:1], v[10:11]
	v_fma_f64 v[12:13], v[12:13], s[2:3], v[10:11]
	v_add_f64_e32 v[2:3], v[2:3], v[22:23]
	v_add_f64_e32 v[0:1], v[0:1], v[24:25]
	v_add_f64_e64 v[24:25], v[28:29], -v[32:33]
	v_fma_f64 v[10:11], v[16:17], s[2:3], v[14:15]
	v_fma_f64 v[14:15], v[16:17], s[0:1], v[14:15]
	v_add_f64_e32 v[16:17], v[28:29], v[32:33]
	v_add_f64_e32 v[2:3], v[2:3], v[26:27]
	s_wait_dscnt 0x0
	s_delay_alu instid0(VALU_DEP_2) | instskip(SKIP_2) | instid1(VALU_DEP_2)
	v_fma_f64 v[18:19], v[16:17], -0.5, v[4:5]
	v_add_f64_e32 v[16:17], v[30:31], v[34:35]
	v_add_f64_e32 v[4:5], v[4:5], v[28:29]
	v_fma_f64 v[22:23], v[16:17], -0.5, v[6:7]
	v_add_f64_e32 v[6:7], v[6:7], v[30:31]
	s_delay_alu instid0(VALU_DEP_3)
	v_add_f64_e32 v[4:5], v[4:5], v[32:33]
	v_add_f64_e32 v[32:33], v[36:37], v[48:49]
	v_fma_f64 v[16:17], v[20:21], s[0:1], v[18:19]
	v_fma_f64 v[20:21], v[20:21], s[2:3], v[18:19]
	;; [unrolled: 1-line block ×4, first 2 shown]
	ds_load_b128 v[24:27], v168 offset:3168
	ds_load_b128 v[28:31], v168 offset:4752
	v_add_f64_e32 v[6:7], v[6:7], v[34:35]
	s_wait_dscnt 0x1
	v_fma_f64 v[34:35], v[32:33], -0.5, v[24:25]
	v_add_f64_e32 v[32:33], v[38:39], v[50:51]
	v_add_f64_e32 v[24:25], v[24:25], v[36:37]
	s_delay_alu instid0(VALU_DEP_2) | instskip(SKIP_2) | instid1(VALU_DEP_4)
	v_fma_f64 v[52:53], v[32:33], -0.5, v[26:27]
	v_add_f64_e32 v[26:27], v[26:27], v[38:39]
	v_add_f64_e64 v[38:39], v[38:39], -v[50:51]
	v_add_f64_e32 v[24:25], v[24:25], v[48:49]
	v_add_f64_e64 v[48:49], v[36:37], -v[48:49]
	s_delay_alu instid0(VALU_DEP_4)
	v_add_f64_e32 v[26:27], v[26:27], v[50:51]
	v_add_f64_e32 v[50:51], v[42:43], v[46:47]
	v_fma_f64 v[32:33], v[38:39], s[0:1], v[34:35]
	v_fma_f64 v[36:37], v[38:39], s[2:3], v[34:35]
	;; [unrolled: 1-line block ×4, first 2 shown]
	v_add_f64_e32 v[48:49], v[40:41], v[44:45]
	s_wait_dscnt 0x0
	v_fma_f64 v[50:51], v[50:51], -0.5, v[30:31]
	v_add_f64_e32 v[30:31], v[30:31], v[42:43]
	v_add_f64_e64 v[42:43], v[42:43], -v[46:47]
	s_delay_alu instid0(VALU_DEP_4) | instskip(SKIP_1) | instid1(VALU_DEP_4)
	v_fma_f64 v[48:49], v[48:49], -0.5, v[28:29]
	v_add_f64_e32 v[28:29], v[28:29], v[40:41]
	v_add_f64_e32 v[30:31], v[30:31], v[46:47]
	v_add_f64_e64 v[46:47], v[40:41], -v[44:45]
	s_delay_alu instid0(VALU_DEP_4) | instskip(NEXT) | instid1(VALU_DEP_4)
	v_fma_f64 v[40:41], v[42:43], s[0:1], v[48:49]
	v_add_f64_e32 v[28:29], v[28:29], v[44:45]
	v_fma_f64 v[44:45], v[42:43], s[2:3], v[48:49]
	s_delay_alu instid0(VALU_DEP_4)
	v_fma_f64 v[42:43], v[46:47], s[2:3], v[50:51]
	v_fma_f64 v[46:47], v[46:47], s[0:1], v[50:51]
	ds_load_b128 v[48:51], v168 offset:6336
	ds_load_b128 v[52:55], v168 offset:7920
	global_wb scope:SCOPE_SE
	s_wait_dscnt 0x0
	s_barrier_signal -1
	s_barrier_wait -1
	global_inv scope:SCOPE_SE
	v_fma_f64 v[74:75], v[74:75], -0.5, v[50:51]
	v_add_f64_e32 v[50:51], v[50:51], v[58:59]
	v_fma_f64 v[72:73], v[72:73], -0.5, v[48:49]
	v_add_f64_e32 v[48:49], v[48:49], v[56:57]
	v_add_f64_e64 v[58:59], v[58:59], -v[62:63]
	s_delay_alu instid0(VALU_DEP_4) | instskip(SKIP_1) | instid1(VALU_DEP_4)
	v_add_f64_e32 v[50:51], v[50:51], v[62:63]
	v_add_f64_e64 v[62:63], v[56:57], -v[60:61]
	v_add_f64_e32 v[48:49], v[48:49], v[60:61]
	s_delay_alu instid0(VALU_DEP_4)
	v_fma_f64 v[56:57], v[58:59], s[0:1], v[72:73]
	v_fma_f64 v[60:61], v[58:59], s[2:3], v[72:73]
	v_add_f64_e32 v[72:73], v[64:65], v[68:69]
	v_fma_f64 v[58:59], v[62:63], s[2:3], v[74:75]
	v_fma_f64 v[62:63], v[62:63], s[0:1], v[74:75]
	v_add_f64_e32 v[74:75], v[66:67], v[70:71]
	s_delay_alu instid0(VALU_DEP_4) | instskip(SKIP_1) | instid1(VALU_DEP_3)
	v_fma_f64 v[72:73], v[72:73], -0.5, v[52:53]
	v_add_f64_e32 v[52:53], v[52:53], v[64:65]
	v_fma_f64 v[74:75], v[74:75], -0.5, v[54:55]
	v_add_f64_e32 v[54:55], v[54:55], v[66:67]
	s_delay_alu instid0(VALU_DEP_3) | instskip(NEXT) | instid1(VALU_DEP_2)
	v_add_f64_e32 v[52:53], v[52:53], v[68:69]
	v_add_f64_e32 v[54:55], v[54:55], v[70:71]
	v_add_f64_e64 v[70:71], v[64:65], -v[68:69]
	v_fma_f64 v[64:65], v[76:77], s[0:1], v[72:73]
	v_fma_f64 v[68:69], v[76:77], s[2:3], v[72:73]
	s_delay_alu instid0(VALU_DEP_3)
	v_fma_f64 v[66:67], v[70:71], s[2:3], v[74:75]
	v_fma_f64 v[70:71], v[70:71], s[0:1], v[74:75]
	ds_store_b128 v168, v[0:3]
	ds_store_b128 v168, v[4:7] offset:1584
	ds_store_b128 v168, v[48:51] offset:15840
	;; [unrolled: 1-line block ×17, first 2 shown]
	global_wb scope:SCOPE_SE
	s_wait_dscnt 0x0
	s_barrier_signal -1
	s_barrier_wait -1
	global_inv scope:SCOPE_SE
	ds_load_b128 v[0:3], v168 offset:14256
	ds_load_b128 v[4:7], v168 offset:12672
	scratch_load_b128 v[14:17], off, off offset:624 th:TH_LOAD_LU ; 16-byte Folded Reload
	s_mul_u64 s[2:3], s[4:5], 0xa2
	s_wait_alu 0xfffe
	s_lshl_b64 s[2:3], s[2:3], 4
	s_wait_loadcnt_dscnt 0x1
	v_mul_f64_e32 v[8:9], v[16:17], v[2:3]
	s_delay_alu instid0(VALU_DEP_1) | instskip(SKIP_1) | instid1(VALU_DEP_1)
	v_fma_f64 v[12:13], v[14:15], v[0:1], v[8:9]
	v_mul_f64_e32 v[0:1], v[16:17], v[0:1]
	v_fma_f64 v[14:15], v[14:15], v[2:3], -v[0:1]
	ds_load_b128 v[0:3], v168 offset:15840
	ds_load_b128 v[8:11], v168 offset:17424
	s_wait_dscnt 0x1
	v_mul_f64_e32 v[16:17], v[182:183], v[2:3]
	s_delay_alu instid0(VALU_DEP_1) | instskip(SKIP_1) | instid1(VALU_DEP_1)
	v_fma_f64 v[16:17], v[180:181], v[0:1], v[16:17]
	v_mul_f64_e32 v[0:1], v[182:183], v[0:1]
	v_fma_f64 v[18:19], v[180:181], v[2:3], -v[0:1]
	s_wait_dscnt 0x0
	v_mul_f64_e32 v[0:1], v[242:243], v[10:11]
	s_delay_alu instid0(VALU_DEP_1) | instskip(SKIP_1) | instid1(VALU_DEP_1)
	v_fma_f64 v[28:29], v[240:241], v[8:9], v[0:1]
	v_mul_f64_e32 v[0:1], v[242:243], v[8:9]
	v_fma_f64 v[30:31], v[240:241], v[10:11], -v[0:1]
	ds_load_b128 v[0:3], v168 offset:19008
	ds_load_b128 v[8:11], v168 offset:20592
	s_wait_dscnt 0x1
	v_mul_f64_e32 v[20:21], v[226:227], v[2:3]
	s_delay_alu instid0(VALU_DEP_1) | instskip(SKIP_1) | instid1(VALU_DEP_1)
	v_fma_f64 v[32:33], v[224:225], v[0:1], v[20:21]
	v_mul_f64_e32 v[0:1], v[226:227], v[0:1]
	v_fma_f64 v[34:35], v[224:225], v[2:3], -v[0:1]
	s_wait_dscnt 0x0
	;; [unrolled: 14-line block ×4, first 2 shown]
	v_mul_f64_e32 v[0:1], v[254:255], v[10:11]
	s_delay_alu instid0(VALU_DEP_1) | instskip(SKIP_1) | instid1(VALU_DEP_2)
	v_fma_f64 v[68:69], v[252:253], v[8:9], v[0:1]
	v_mul_f64_e32 v[0:1], v[254:255], v[8:9]
	v_add_f64_e64 v[68:69], v[4:5], -v[68:69]
	s_delay_alu instid0(VALU_DEP_2)
	v_fma_f64 v[70:71], v[252:253], v[10:11], -v[0:1]
	ds_load_b128 v[0:3], v168
	ds_load_b128 v[8:11], v168 offset:1584
	ds_load_b128 v[20:23], v168 offset:3168
	;; [unrolled: 1-line block ×7, first 2 shown]
	s_wait_dscnt 0x7
	v_add_f64_e64 v[12:13], v[0:1], -v[12:13]
	v_add_f64_e64 v[14:15], v[2:3], -v[14:15]
	s_wait_dscnt 0x6
	v_add_f64_e64 v[16:17], v[8:9], -v[16:17]
	v_add_f64_e64 v[18:19], v[10:11], -v[18:19]
	;; [unrolled: 3-line block ×8, first 2 shown]
	v_fma_f64 v[4:5], v[4:5], 2.0, -v[68:69]
	v_add_f64_e64 v[70:71], v[6:7], -v[70:71]
	v_fma_f64 v[0:1], v[0:1], 2.0, -v[12:13]
	v_fma_f64 v[2:3], v[2:3], 2.0, -v[14:15]
	;; [unrolled: 1-line block ×17, first 2 shown]
	ds_store_b128 v168, v[16:19] offset:15840
	ds_store_b128 v168, v[28:31] offset:17424
	;; [unrolled: 1-line block ×8, first 2 shown]
	ds_store_b128 v168, v[0:3]
	ds_store_b128 v168, v[8:11] offset:1584
	ds_store_b128 v168, v[20:23] offset:3168
	ds_store_b128 v168, v[24:27] offset:4752
	ds_store_b128 v168, v[36:39] offset:6336
	ds_store_b128 v168, v[40:43] offset:7920
	ds_store_b128 v168, v[52:55] offset:9504
	ds_store_b128 v168, v[56:59] offset:11088
	ds_store_b128 v168, v[12:15] offset:14256
	ds_store_b128 v168, v[4:7] offset:12672
	global_wb scope:SCOPE_SE
	s_wait_dscnt 0x0
	s_barrier_signal -1
	s_barrier_wait -1
	global_inv scope:SCOPE_SE
	ds_load_b128 v[0:3], v168
	ds_load_b128 v[4:7], v168 offset:2592
	s_clause 0x9
	scratch_load_b128 v[20:23], off, off offset:80 th:TH_LOAD_LU
	scratch_load_b128 v[24:27], off, off offset:96 th:TH_LOAD_LU
	;; [unrolled: 1-line block ×10, first 2 shown]
	ds_load_b128 v[8:11], v168 offset:5184
	scratch_load_b32 v174, off, off offset:544 th:TH_LOAD_LU ; 4-byte Folded Reload
	s_wait_loadcnt_dscnt 0xa02
	v_mul_f64_e32 v[12:13], v[22:23], v[2:3]
	v_mul_f64_e32 v[14:15], v[22:23], v[0:1]
	s_wait_loadcnt_dscnt 0x901
	v_mul_f64_e32 v[16:17], v[26:27], v[6:7]
	v_mul_f64_e32 v[18:19], v[26:27], v[4:5]
	s_delay_alu instid0(VALU_DEP_4) | instskip(NEXT) | instid1(VALU_DEP_4)
	v_fma_f64 v[12:13], v[20:21], v[0:1], v[12:13]
	v_fma_f64 v[14:15], v[20:21], v[2:3], -v[14:15]
	ds_load_b128 v[0:3], v168 offset:7776
	s_wait_loadcnt_dscnt 0x801
	v_mul_f64_e32 v[20:21], v[30:31], v[10:11]
	v_mul_f64_e32 v[22:23], v[30:31], v[8:9]
	v_fma_f64 v[16:17], v[24:25], v[4:5], v[16:17]
	v_fma_f64 v[18:19], v[24:25], v[6:7], -v[18:19]
	ds_load_b128 v[4:7], v168 offset:10368
	s_wait_loadcnt_dscnt 0x701
	v_mul_f64_e32 v[24:25], v[34:35], v[2:3]
	v_mul_f64_e32 v[26:27], v[34:35], v[0:1]
	;; [unrolled: 6-line block ×4, first 2 shown]
	v_fma_f64 v[28:29], v[36:37], v[4:5], v[28:29]
	v_fma_f64 v[30:31], v[36:37], v[6:7], -v[30:31]
	ds_load_b128 v[4:7], v168 offset:18144
	v_fma_f64 v[32:33], v[40:41], v[8:9], v[32:33]
	v_fma_f64 v[34:35], v[40:41], v[10:11], -v[34:35]
	ds_load_b128 v[8:11], v168 offset:20736
	s_wait_loadcnt_dscnt 0x401
	v_mul_f64_e32 v[40:41], v[50:51], v[6:7]
	v_mul_f64_e32 v[42:43], v[50:51], v[4:5]
	s_delay_alu instid0(VALU_DEP_2) | instskip(NEXT) | instid1(VALU_DEP_2)
	v_fma_f64 v[40:41], v[48:49], v[4:5], v[40:41]
	v_fma_f64 v[42:43], v[48:49], v[6:7], -v[42:43]
	scratch_load_b64 v[48:49], off, off offset:72 th:TH_LOAD_LU ; 8-byte Folded Reload
	s_wait_loadcnt 0x3
	v_mul_f64_e32 v[36:37], v[46:47], v[2:3]
	v_mul_f64_e32 v[38:39], v[46:47], v[0:1]
	ds_load_b128 v[4:7], v168 offset:25920
	v_fma_f64 v[36:37], v[44:45], v[0:1], v[36:37]
	v_fma_f64 v[38:39], v[44:45], v[2:3], -v[38:39]
	ds_load_b128 v[0:3], v168 offset:23328
	s_wait_loadcnt_dscnt 0x202
	v_mul_f64_e32 v[44:45], v[54:55], v[10:11]
	v_mul_f64_e32 v[46:47], v[54:55], v[8:9]
	s_delay_alu instid0(VALU_DEP_2) | instskip(NEXT) | instid1(VALU_DEP_2)
	v_fma_f64 v[44:45], v[52:53], v[8:9], v[44:45]
	v_fma_f64 v[46:47], v[52:53], v[10:11], -v[46:47]
	s_wait_dscnt 0x0
	v_mul_f64_e32 v[8:9], v[60:61], v[2:3]
	v_mul_f64_e32 v[10:11], v[60:61], v[0:1]
	scratch_load_b128 v[60:63], off, off offset:224 th:TH_LOAD_LU ; 16-byte Folded Reload
	v_fma_f64 v[0:1], v[58:59], v[0:1], v[8:9]
	s_wait_loadcnt 0x1
	v_mov_b32_e32 v50, v48
	s_delay_alu instid0(VALU_DEP_1) | instskip(NEXT) | instid1(VALU_DEP_1)
	v_mad_co_u64_u32 v[48:49], null, s6, v50, 0
	v_mad_co_u64_u32 v[49:50], null, s7, v50, v[49:50]
	;; [unrolled: 1-line block ×3, first 2 shown]
	s_mov_b32 s6, 0x7210aa18
	s_mov_b32 s7, 0x3f426369
	s_wait_alu 0xfffe
	v_mul_f64_e32 v[8:9], s[6:7], v[18:19]
	s_delay_alu instid0(VALU_DEP_3) | instskip(SKIP_3) | instid1(VALU_DEP_4)
	v_lshlrev_b64_e32 v[48:49], 4, v[48:49]
	v_mul_f64_e32 v[18:19], s[6:7], v[28:29]
	v_mul_f64_e32 v[28:29], s[6:7], v[38:39]
	;; [unrolled: 1-line block ×3, first 2 shown]
	v_add_co_u32 v48, s0, s10, v48
	s_wait_alu 0xf1ff
	v_add_co_ci_u32_e64 v49, s0, s11, v49, s0
	s_wait_loadcnt 0x0
	v_mul_f64_e32 v[52:53], v[62:63], v[6:7]
	v_mul_f64_e32 v[54:55], v[62:63], v[4:5]
	s_delay_alu instid0(VALU_DEP_2) | instskip(NEXT) | instid1(VALU_DEP_3)
	v_mad_co_u64_u32 v[56:57], null, s5, v174, v[51:52]
	v_fma_f64 v[52:53], v[60:61], v[4:5], v[52:53]
	s_delay_alu instid0(VALU_DEP_3)
	v_fma_f64 v[54:55], v[60:61], v[6:7], -v[54:55]
	v_mul_f64_e32 v[4:5], s[6:7], v[14:15]
	v_mul_f64_e32 v[6:7], s[6:7], v[16:17]
	;; [unrolled: 1-line block ×4, first 2 shown]
	v_mov_b32_e32 v51, v56
	v_fma_f64 v[56:57], v[58:59], v[2:3], -v[10:11]
	v_mul_f64_e32 v[2:3], s[6:7], v[12:13]
	v_mul_f64_e32 v[10:11], s[6:7], v[20:21]
	;; [unrolled: 1-line block ×3, first 2 shown]
	v_lshlrev_b64_e32 v[50:51], 4, v[50:51]
	v_mul_f64_e32 v[20:21], s[6:7], v[30:31]
	v_mul_f64_e32 v[22:23], s[6:7], v[32:33]
	;; [unrolled: 1-line block ×5, first 2 shown]
	v_add_co_u32 v48, s0, v48, v50
	s_wait_alu 0xf1ff
	v_add_co_ci_u32_e64 v49, s0, v49, v51, s0
	v_mul_f64_e32 v[30:31], s[6:7], v[40:41]
	s_delay_alu instid0(VALU_DEP_3) | instskip(SKIP_1) | instid1(VALU_DEP_3)
	v_add_co_u32 v50, s0, v48, s2
	s_wait_alu 0xf1ff
	v_add_co_ci_u32_e64 v51, s0, s3, v49, s0
	v_mul_f64_e32 v[32:33], s[6:7], v[42:43]
	s_delay_alu instid0(VALU_DEP_3) | instskip(SKIP_1) | instid1(VALU_DEP_3)
	;; [unrolled: 5-line block ×3, first 2 shown]
	v_add_co_u32 v60, s0, v58, s2
	s_wait_alu 0xf1ff
	v_add_co_ci_u32_e64 v61, s0, s3, v59, s0
	s_delay_alu instid0(VALU_DEP_2) | instskip(SKIP_1) | instid1(VALU_DEP_2)
	v_add_co_u32 v62, s0, v60, s2
	s_wait_alu 0xf1ff
	v_add_co_ci_u32_e64 v63, s0, s3, v61, s0
	v_mul_f64_e32 v[42:43], s[6:7], v[52:53]
	s_delay_alu instid0(VALU_DEP_3) | instskip(SKIP_1) | instid1(VALU_DEP_3)
	v_add_co_u32 v46, s0, v62, s2
	s_wait_alu 0xf1ff
	v_add_co_ci_u32_e64 v47, s0, s3, v63, s0
	v_mul_f64_e32 v[40:41], s[6:7], v[56:57]
	v_mul_f64_e32 v[44:45], s[6:7], v[54:55]
	v_add_co_u32 v52, s0, v46, s2
	s_wait_alu 0xf1ff
	v_add_co_ci_u32_e64 v53, s0, s3, v47, s0
	s_delay_alu instid0(VALU_DEP_2) | instskip(SKIP_1) | instid1(VALU_DEP_2)
	v_add_co_u32 v54, s0, v52, s2
	s_wait_alu 0xf1ff
	v_add_co_ci_u32_e64 v55, s0, s3, v53, s0
	s_delay_alu instid0(VALU_DEP_2) | instskip(SKIP_1) | instid1(VALU_DEP_2)
	;; [unrolled: 4-line block ×4, first 2 shown]
	v_add_co_u32 v0, s0, v64, s2
	s_wait_alu 0xf1ff
	v_add_co_ci_u32_e64 v1, s0, s3, v65, s0
	s_clause 0x4
	global_store_b128 v[48:49], v[2:5], off
	global_store_b128 v[50:51], v[6:9], off
	;; [unrolled: 1-line block ×11, first 2 shown]
	s_and_b32 exec_lo, exec_lo, vcc_lo
	s_cbranch_execz .LBB0_15
; %bb.14:
	scratch_load_b64 v[16:17], off, off th:TH_LOAD_LU ; 8-byte Folded Reload
	s_mul_i32 s0, s5, 0xffffa0f0
	s_wait_alu 0xfffe
	s_sub_co_i32 s0, s0, s4
	s_wait_loadcnt 0x0
	global_load_b128 v[2:5], v[16:17], off offset:1584
	ds_load_b128 v[6:9], v168 offset:1584
	ds_load_b128 v[10:13], v168 offset:4176
	s_wait_loadcnt_dscnt 0x1
	v_mul_f64_e32 v[14:15], v[8:9], v[4:5]
	v_mul_f64_e32 v[4:5], v[6:7], v[4:5]
	s_delay_alu instid0(VALU_DEP_2) | instskip(NEXT) | instid1(VALU_DEP_2)
	v_fma_f64 v[6:7], v[6:7], v[2:3], v[14:15]
	v_fma_f64 v[4:5], v[2:3], v[8:9], -v[4:5]
	s_delay_alu instid0(VALU_DEP_2) | instskip(NEXT) | instid1(VALU_DEP_2)
	v_mul_f64_e32 v[2:3], s[6:7], v[6:7]
	v_mul_f64_e32 v[4:5], s[6:7], v[4:5]
	v_mad_co_u64_u32 v[6:7], null, 0xffffa0f0, s4, v[0:1]
	s_wait_alu 0xfffe
	s_delay_alu instid0(VALU_DEP_1)
	v_add_nc_u32_e32 v7, s0, v7
	global_store_b128 v[6:7], v[2:5], off
	global_load_b128 v[0:3], v[16:17], off offset:4176
	s_wait_loadcnt_dscnt 0x0
	v_mul_f64_e32 v[4:5], v[12:13], v[2:3]
	v_mul_f64_e32 v[2:3], v[10:11], v[2:3]
	s_delay_alu instid0(VALU_DEP_2) | instskip(NEXT) | instid1(VALU_DEP_2)
	v_fma_f64 v[4:5], v[10:11], v[0:1], v[4:5]
	v_fma_f64 v[2:3], v[0:1], v[12:13], -v[2:3]
	v_add_co_u32 v12, vcc_lo, v6, s2
	s_wait_alu 0xfffd
	v_add_co_ci_u32_e32 v13, vcc_lo, s3, v7, vcc_lo
	s_delay_alu instid0(VALU_DEP_4) | instskip(NEXT) | instid1(VALU_DEP_4)
	v_mul_f64_e32 v[0:1], s[6:7], v[4:5]
	v_mul_f64_e32 v[2:3], s[6:7], v[2:3]
	global_store_b128 v[12:13], v[0:3], off
	global_load_b128 v[0:3], v[16:17], off offset:6768
	ds_load_b128 v[4:7], v168 offset:6768
	ds_load_b128 v[8:11], v168 offset:9360
	s_wait_loadcnt_dscnt 0x1
	v_mul_f64_e32 v[14:15], v[6:7], v[2:3]
	v_mul_f64_e32 v[2:3], v[4:5], v[2:3]
	s_delay_alu instid0(VALU_DEP_2) | instskip(NEXT) | instid1(VALU_DEP_2)
	v_fma_f64 v[4:5], v[4:5], v[0:1], v[14:15]
	v_fma_f64 v[2:3], v[0:1], v[6:7], -v[2:3]
	s_delay_alu instid0(VALU_DEP_2) | instskip(NEXT) | instid1(VALU_DEP_2)
	v_mul_f64_e32 v[0:1], s[6:7], v[4:5]
	v_mul_f64_e32 v[2:3], s[6:7], v[2:3]
	v_add_co_u32 v4, vcc_lo, v12, s2
	s_wait_alu 0xfffd
	v_add_co_ci_u32_e32 v5, vcc_lo, s3, v13, vcc_lo
	s_delay_alu instid0(VALU_DEP_2) | instskip(SKIP_1) | instid1(VALU_DEP_2)
	v_add_co_u32 v12, vcc_lo, v4, s2
	s_wait_alu 0xfffd
	v_add_co_ci_u32_e32 v13, vcc_lo, s3, v5, vcc_lo
	global_store_b128 v[4:5], v[0:3], off
	global_load_b128 v[0:3], v[16:17], off offset:9360
	s_wait_loadcnt_dscnt 0x0
	v_mul_f64_e32 v[6:7], v[10:11], v[2:3]
	v_mul_f64_e32 v[2:3], v[8:9], v[2:3]
	s_delay_alu instid0(VALU_DEP_2) | instskip(NEXT) | instid1(VALU_DEP_2)
	v_fma_f64 v[6:7], v[8:9], v[0:1], v[6:7]
	v_fma_f64 v[2:3], v[0:1], v[10:11], -v[2:3]
	s_delay_alu instid0(VALU_DEP_2) | instskip(NEXT) | instid1(VALU_DEP_2)
	v_mul_f64_e32 v[0:1], s[6:7], v[6:7]
	v_mul_f64_e32 v[2:3], s[6:7], v[2:3]
	global_store_b128 v[12:13], v[0:3], off
	global_load_b128 v[0:3], v[16:17], off offset:11952
	ds_load_b128 v[4:7], v168 offset:11952
	ds_load_b128 v[8:11], v168 offset:14544
	s_wait_loadcnt_dscnt 0x1
	v_mul_f64_e32 v[14:15], v[6:7], v[2:3]
	v_mul_f64_e32 v[2:3], v[4:5], v[2:3]
	s_delay_alu instid0(VALU_DEP_2) | instskip(NEXT) | instid1(VALU_DEP_2)
	v_fma_f64 v[4:5], v[4:5], v[0:1], v[14:15]
	v_fma_f64 v[2:3], v[0:1], v[6:7], -v[2:3]
	s_delay_alu instid0(VALU_DEP_2) | instskip(NEXT) | instid1(VALU_DEP_2)
	v_mul_f64_e32 v[0:1], s[6:7], v[4:5]
	v_mul_f64_e32 v[2:3], s[6:7], v[2:3]
	v_add_co_u32 v4, vcc_lo, v12, s2
	s_wait_alu 0xfffd
	v_add_co_ci_u32_e32 v5, vcc_lo, s3, v13, vcc_lo
	s_delay_alu instid0(VALU_DEP_2) | instskip(SKIP_1) | instid1(VALU_DEP_2)
	v_add_co_u32 v12, vcc_lo, v4, s2
	s_wait_alu 0xfffd
	v_add_co_ci_u32_e32 v13, vcc_lo, s3, v5, vcc_lo
	global_store_b128 v[4:5], v[0:3], off
	global_load_b128 v[0:3], v[16:17], off offset:14544
	s_wait_loadcnt_dscnt 0x0
	v_mul_f64_e32 v[6:7], v[10:11], v[2:3]
	v_mul_f64_e32 v[2:3], v[8:9], v[2:3]
	s_delay_alu instid0(VALU_DEP_2) | instskip(NEXT) | instid1(VALU_DEP_2)
	v_fma_f64 v[6:7], v[8:9], v[0:1], v[6:7]
	v_fma_f64 v[2:3], v[0:1], v[10:11], -v[2:3]
	s_delay_alu instid0(VALU_DEP_2) | instskip(NEXT) | instid1(VALU_DEP_2)
	;; [unrolled: 31-line block ×3, first 2 shown]
	v_mul_f64_e32 v[0:1], s[6:7], v[6:7]
	v_mul_f64_e32 v[2:3], s[6:7], v[2:3]
	global_store_b128 v[12:13], v[0:3], off
	global_load_b128 v[0:3], v[16:17], off offset:22320
	ds_load_b128 v[4:7], v168 offset:22320
	ds_load_b128 v[8:11], v168 offset:24912
	s_wait_loadcnt_dscnt 0x1
	v_mul_f64_e32 v[14:15], v[6:7], v[2:3]
	v_mul_f64_e32 v[2:3], v[4:5], v[2:3]
	s_delay_alu instid0(VALU_DEP_2) | instskip(NEXT) | instid1(VALU_DEP_2)
	v_fma_f64 v[4:5], v[4:5], v[0:1], v[14:15]
	v_fma_f64 v[2:3], v[0:1], v[6:7], -v[2:3]
	s_delay_alu instid0(VALU_DEP_2) | instskip(NEXT) | instid1(VALU_DEP_2)
	v_mul_f64_e32 v[0:1], s[6:7], v[4:5]
	v_mul_f64_e32 v[2:3], s[6:7], v[2:3]
	v_add_co_u32 v4, vcc_lo, v12, s2
	s_wait_alu 0xfffd
	v_add_co_ci_u32_e32 v5, vcc_lo, s3, v13, vcc_lo
	global_store_b128 v[4:5], v[0:3], off
	global_load_b128 v[0:3], v[16:17], off offset:24912
	s_wait_loadcnt_dscnt 0x0
	v_mul_f64_e32 v[6:7], v[10:11], v[2:3]
	v_mul_f64_e32 v[2:3], v[8:9], v[2:3]
	s_delay_alu instid0(VALU_DEP_2) | instskip(NEXT) | instid1(VALU_DEP_2)
	v_fma_f64 v[6:7], v[8:9], v[0:1], v[6:7]
	v_fma_f64 v[2:3], v[0:1], v[10:11], -v[2:3]
	v_add_co_u32 v8, vcc_lo, v4, s2
	s_wait_alu 0xfffd
	v_add_co_ci_u32_e32 v9, vcc_lo, s3, v5, vcc_lo
	s_delay_alu instid0(VALU_DEP_4) | instskip(NEXT) | instid1(VALU_DEP_4)
	v_mul_f64_e32 v[0:1], s[6:7], v[6:7]
	v_mul_f64_e32 v[2:3], s[6:7], v[2:3]
	ds_load_b128 v[4:7], v168 offset:27504
	global_store_b128 v[8:9], v[0:3], off
	global_load_b128 v[0:3], v[16:17], off offset:27504
	s_wait_loadcnt_dscnt 0x0
	v_mul_f64_e32 v[10:11], v[6:7], v[2:3]
	v_mul_f64_e32 v[2:3], v[4:5], v[2:3]
	s_delay_alu instid0(VALU_DEP_2) | instskip(NEXT) | instid1(VALU_DEP_2)
	v_fma_f64 v[4:5], v[4:5], v[0:1], v[10:11]
	v_fma_f64 v[2:3], v[0:1], v[6:7], -v[2:3]
	s_delay_alu instid0(VALU_DEP_2) | instskip(NEXT) | instid1(VALU_DEP_2)
	v_mul_f64_e32 v[0:1], s[6:7], v[4:5]
	v_mul_f64_e32 v[2:3], s[6:7], v[2:3]
	v_add_co_u32 v4, vcc_lo, v8, s2
	s_wait_alu 0xfffd
	v_add_co_ci_u32_e32 v5, vcc_lo, s3, v9, vcc_lo
	global_store_b128 v[4:5], v[0:3], off
.LBB0_15:
	s_nop 0
	s_sendmsg sendmsg(MSG_DEALLOC_VGPRS)
	s_endpgm
	.section	.rodata,"a",@progbits
	.p2align	6, 0x0
	.amdhsa_kernel bluestein_single_fwd_len1782_dim1_dp_op_CI_CI
		.amdhsa_group_segment_fixed_size 28512
		.amdhsa_private_segment_fixed_size 756
		.amdhsa_kernarg_size 104
		.amdhsa_user_sgpr_count 2
		.amdhsa_user_sgpr_dispatch_ptr 0
		.amdhsa_user_sgpr_queue_ptr 0
		.amdhsa_user_sgpr_kernarg_segment_ptr 1
		.amdhsa_user_sgpr_dispatch_id 0
		.amdhsa_user_sgpr_private_segment_size 0
		.amdhsa_wavefront_size32 1
		.amdhsa_uses_dynamic_stack 0
		.amdhsa_enable_private_segment 1
		.amdhsa_system_sgpr_workgroup_id_x 1
		.amdhsa_system_sgpr_workgroup_id_y 0
		.amdhsa_system_sgpr_workgroup_id_z 0
		.amdhsa_system_sgpr_workgroup_info 0
		.amdhsa_system_vgpr_workitem_id 0
		.amdhsa_next_free_vgpr 256
		.amdhsa_next_free_sgpr 40
		.amdhsa_reserve_vcc 1
		.amdhsa_float_round_mode_32 0
		.amdhsa_float_round_mode_16_64 0
		.amdhsa_float_denorm_mode_32 3
		.amdhsa_float_denorm_mode_16_64 3
		.amdhsa_fp16_overflow 0
		.amdhsa_workgroup_processor_mode 1
		.amdhsa_memory_ordered 1
		.amdhsa_forward_progress 0
		.amdhsa_round_robin_scheduling 0
		.amdhsa_exception_fp_ieee_invalid_op 0
		.amdhsa_exception_fp_denorm_src 0
		.amdhsa_exception_fp_ieee_div_zero 0
		.amdhsa_exception_fp_ieee_overflow 0
		.amdhsa_exception_fp_ieee_underflow 0
		.amdhsa_exception_fp_ieee_inexact 0
		.amdhsa_exception_int_div_zero 0
	.end_amdhsa_kernel
	.text
.Lfunc_end0:
	.size	bluestein_single_fwd_len1782_dim1_dp_op_CI_CI, .Lfunc_end0-bluestein_single_fwd_len1782_dim1_dp_op_CI_CI
                                        ; -- End function
	.section	.AMDGPU.csdata,"",@progbits
; Kernel info:
; codeLenInByte = 30860
; NumSgprs: 42
; NumVgprs: 256
; ScratchSize: 756
; MemoryBound: 0
; FloatMode: 240
; IeeeMode: 1
; LDSByteSize: 28512 bytes/workgroup (compile time only)
; SGPRBlocks: 5
; VGPRBlocks: 31
; NumSGPRsForWavesPerEU: 42
; NumVGPRsForWavesPerEU: 256
; Occupancy: 4
; WaveLimiterHint : 1
; COMPUTE_PGM_RSRC2:SCRATCH_EN: 1
; COMPUTE_PGM_RSRC2:USER_SGPR: 2
; COMPUTE_PGM_RSRC2:TRAP_HANDLER: 0
; COMPUTE_PGM_RSRC2:TGID_X_EN: 1
; COMPUTE_PGM_RSRC2:TGID_Y_EN: 0
; COMPUTE_PGM_RSRC2:TGID_Z_EN: 0
; COMPUTE_PGM_RSRC2:TIDIG_COMP_CNT: 0
	.text
	.p2alignl 7, 3214868480
	.fill 96, 4, 3214868480
	.type	__hip_cuid_dec4c7f541376231,@object ; @__hip_cuid_dec4c7f541376231
	.section	.bss,"aw",@nobits
	.globl	__hip_cuid_dec4c7f541376231
__hip_cuid_dec4c7f541376231:
	.byte	0                               ; 0x0
	.size	__hip_cuid_dec4c7f541376231, 1

	.ident	"AMD clang version 19.0.0git (https://github.com/RadeonOpenCompute/llvm-project roc-6.4.0 25133 c7fe45cf4b819c5991fe208aaa96edf142730f1d)"
	.section	".note.GNU-stack","",@progbits
	.addrsig
	.addrsig_sym __hip_cuid_dec4c7f541376231
	.amdgpu_metadata
---
amdhsa.kernels:
  - .args:
      - .actual_access:  read_only
        .address_space:  global
        .offset:         0
        .size:           8
        .value_kind:     global_buffer
      - .actual_access:  read_only
        .address_space:  global
        .offset:         8
        .size:           8
        .value_kind:     global_buffer
      - .actual_access:  read_only
        .address_space:  global
        .offset:         16
        .size:           8
        .value_kind:     global_buffer
      - .actual_access:  read_only
        .address_space:  global
        .offset:         24
        .size:           8
        .value_kind:     global_buffer
      - .actual_access:  read_only
        .address_space:  global
        .offset:         32
        .size:           8
        .value_kind:     global_buffer
      - .offset:         40
        .size:           8
        .value_kind:     by_value
      - .address_space:  global
        .offset:         48
        .size:           8
        .value_kind:     global_buffer
      - .address_space:  global
        .offset:         56
        .size:           8
        .value_kind:     global_buffer
      - .address_space:  global
        .offset:         64
        .size:           8
        .value_kind:     global_buffer
      - .address_space:  global
        .offset:         72
        .size:           8
        .value_kind:     global_buffer
      - .offset:         80
        .size:           4
        .value_kind:     by_value
      - .address_space:  global
        .offset:         88
        .size:           8
        .value_kind:     global_buffer
      - .address_space:  global
        .offset:         96
        .size:           8
        .value_kind:     global_buffer
    .group_segment_fixed_size: 28512
    .kernarg_segment_align: 8
    .kernarg_segment_size: 104
    .language:       OpenCL C
    .language_version:
      - 2
      - 0
    .max_flat_workgroup_size: 99
    .name:           bluestein_single_fwd_len1782_dim1_dp_op_CI_CI
    .private_segment_fixed_size: 756
    .sgpr_count:     42
    .sgpr_spill_count: 0
    .symbol:         bluestein_single_fwd_len1782_dim1_dp_op_CI_CI.kd
    .uniform_work_group_size: 1
    .uses_dynamic_stack: false
    .vgpr_count:     256
    .vgpr_spill_count: 204
    .wavefront_size: 32
    .workgroup_processor_mode: 1
amdhsa.target:   amdgcn-amd-amdhsa--gfx1201
amdhsa.version:
  - 1
  - 2
...

	.end_amdgpu_metadata
